;; amdgpu-corpus repo=ROCm/rocFFT kind=compiled arch=gfx950 opt=O3
	.text
	.amdgcn_target "amdgcn-amd-amdhsa--gfx950"
	.amdhsa_code_object_version 6
	.protected	fft_rtc_fwd_len1694_factors_11_2_11_7_wgs_154_tpt_154_halfLds_sp_op_CI_CI_unitstride_sbrr_C2R_dirReg ; -- Begin function fft_rtc_fwd_len1694_factors_11_2_11_7_wgs_154_tpt_154_halfLds_sp_op_CI_CI_unitstride_sbrr_C2R_dirReg
	.globl	fft_rtc_fwd_len1694_factors_11_2_11_7_wgs_154_tpt_154_halfLds_sp_op_CI_CI_unitstride_sbrr_C2R_dirReg
	.p2align	8
	.type	fft_rtc_fwd_len1694_factors_11_2_11_7_wgs_154_tpt_154_halfLds_sp_op_CI_CI_unitstride_sbrr_C2R_dirReg,@function
fft_rtc_fwd_len1694_factors_11_2_11_7_wgs_154_tpt_154_halfLds_sp_op_CI_CI_unitstride_sbrr_C2R_dirReg: ; @fft_rtc_fwd_len1694_factors_11_2_11_7_wgs_154_tpt_154_halfLds_sp_op_CI_CI_unitstride_sbrr_C2R_dirReg
; %bb.0:
	s_load_dwordx4 s[4:7], s[0:1], 0x58
	s_load_dwordx4 s[8:11], s[0:1], 0x0
	;; [unrolled: 1-line block ×3, first 2 shown]
	v_mul_u32_u24_e32 v1, 0x1aa, v0
	v_add_u32_sdwa v6, s2, v1 dst_sel:DWORD dst_unused:UNUSED_PAD src0_sel:DWORD src1_sel:WORD_1
	v_mov_b32_e32 v4, 0
	s_waitcnt lgkmcnt(0)
	v_cmp_lt_u64_e64 s[2:3], s[10:11], 2
	v_mov_b32_e32 v7, v4
	s_and_b64 vcc, exec, s[2:3]
	v_mov_b64_e32 v[2:3], 0
	s_cbranch_vccnz .LBB0_8
; %bb.1:
	s_load_dwordx2 s[2:3], s[0:1], 0x10
	s_add_u32 s16, s14, 8
	s_addc_u32 s17, s15, 0
	s_add_u32 s18, s12, 8
	s_addc_u32 s19, s13, 0
	s_waitcnt lgkmcnt(0)
	s_add_u32 s20, s2, 8
	v_mov_b64_e32 v[2:3], 0
	s_addc_u32 s21, s3, 0
	s_mov_b64 s[22:23], 1
	v_mov_b64_e32 v[28:29], v[2:3]
.LBB0_2:                                ; =>This Inner Loop Header: Depth=1
	s_load_dwordx2 s[24:25], s[20:21], 0x0
                                        ; implicit-def: $vgpr30_vgpr31
	s_waitcnt lgkmcnt(0)
	v_or_b32_e32 v5, s25, v7
	v_cmp_ne_u64_e32 vcc, 0, v[4:5]
	s_and_saveexec_b64 s[2:3], vcc
	s_xor_b64 s[26:27], exec, s[2:3]
	s_cbranch_execz .LBB0_4
; %bb.3:                                ;   in Loop: Header=BB0_2 Depth=1
	v_cvt_f32_u32_e32 v1, s24
	v_cvt_f32_u32_e32 v5, s25
	s_sub_u32 s2, 0, s24
	s_subb_u32 s3, 0, s25
	v_fmac_f32_e32 v1, 0x4f800000, v5
	v_rcp_f32_e32 v1, v1
	s_nop 0
	v_mul_f32_e32 v1, 0x5f7ffffc, v1
	v_mul_f32_e32 v5, 0x2f800000, v1
	v_trunc_f32_e32 v5, v5
	v_fmac_f32_e32 v1, 0xcf800000, v5
	v_cvt_u32_f32_e32 v5, v5
	v_cvt_u32_f32_e32 v1, v1
	v_mul_lo_u32 v8, s2, v5
	v_mul_hi_u32 v10, s2, v1
	v_mul_lo_u32 v9, s3, v1
	v_add_u32_e32 v10, v10, v8
	v_mul_lo_u32 v12, s2, v1
	v_add_u32_e32 v13, v10, v9
	v_mul_hi_u32 v8, v1, v12
	v_mul_hi_u32 v11, v1, v13
	v_mul_lo_u32 v10, v1, v13
	v_mov_b32_e32 v9, v4
	v_lshl_add_u64 v[8:9], v[8:9], 0, v[10:11]
	v_mul_hi_u32 v11, v5, v12
	v_mul_lo_u32 v12, v5, v12
	v_add_co_u32_e32 v8, vcc, v8, v12
	v_mul_hi_u32 v10, v5, v13
	s_nop 0
	v_addc_co_u32_e32 v8, vcc, v9, v11, vcc
	v_mov_b32_e32 v9, v4
	s_nop 0
	v_addc_co_u32_e32 v11, vcc, 0, v10, vcc
	v_mul_lo_u32 v10, v5, v13
	v_lshl_add_u64 v[8:9], v[8:9], 0, v[10:11]
	v_add_co_u32_e32 v1, vcc, v1, v8
	v_mul_lo_u32 v10, s2, v1
	s_nop 0
	v_addc_co_u32_e32 v5, vcc, v5, v9, vcc
	v_mul_lo_u32 v8, s2, v5
	v_mul_hi_u32 v9, s2, v1
	v_add_u32_e32 v8, v9, v8
	v_mul_lo_u32 v9, s3, v1
	v_add_u32_e32 v12, v8, v9
	v_mul_hi_u32 v14, v5, v10
	v_mul_lo_u32 v15, v5, v10
	v_mul_hi_u32 v9, v1, v12
	v_mul_lo_u32 v8, v1, v12
	v_mul_hi_u32 v10, v1, v10
	v_mov_b32_e32 v11, v4
	v_lshl_add_u64 v[8:9], v[10:11], 0, v[8:9]
	v_add_co_u32_e32 v8, vcc, v8, v15
	v_mul_hi_u32 v13, v5, v12
	s_nop 0
	v_addc_co_u32_e32 v8, vcc, v9, v14, vcc
	v_mul_lo_u32 v10, v5, v12
	s_nop 0
	v_addc_co_u32_e32 v11, vcc, 0, v13, vcc
	v_mov_b32_e32 v9, v4
	v_lshl_add_u64 v[8:9], v[8:9], 0, v[10:11]
	v_add_co_u32_e32 v1, vcc, v1, v8
	v_mul_hi_u32 v10, v6, v1
	s_nop 0
	v_addc_co_u32_e32 v5, vcc, v5, v9, vcc
	v_mad_u64_u32 v[8:9], s[2:3], v6, v5, 0
	v_mov_b32_e32 v11, v4
	v_lshl_add_u64 v[8:9], v[10:11], 0, v[8:9]
	v_mad_u64_u32 v[12:13], s[2:3], v7, v1, 0
	v_add_co_u32_e32 v1, vcc, v8, v12
	v_mad_u64_u32 v[10:11], s[2:3], v7, v5, 0
	s_nop 0
	v_addc_co_u32_e32 v8, vcc, v9, v13, vcc
	v_mov_b32_e32 v9, v4
	s_nop 0
	v_addc_co_u32_e32 v11, vcc, 0, v11, vcc
	v_lshl_add_u64 v[8:9], v[8:9], 0, v[10:11]
	v_mul_lo_u32 v1, s25, v8
	v_mul_lo_u32 v5, s24, v9
	v_mad_u64_u32 v[10:11], s[2:3], s24, v8, 0
	v_add3_u32 v1, v11, v5, v1
	v_sub_u32_e32 v5, v7, v1
	v_mov_b32_e32 v11, s25
	v_sub_co_u32_e32 v14, vcc, v6, v10
	v_lshl_add_u64 v[12:13], v[8:9], 0, 1
	s_nop 0
	v_subb_co_u32_e64 v5, s[2:3], v5, v11, vcc
	v_subrev_co_u32_e64 v10, s[2:3], s24, v14
	v_subb_co_u32_e32 v1, vcc, v7, v1, vcc
	s_nop 0
	v_subbrev_co_u32_e64 v5, s[2:3], 0, v5, s[2:3]
	v_cmp_le_u32_e64 s[2:3], s25, v5
	v_cmp_le_u32_e32 vcc, s25, v1
	s_nop 0
	v_cndmask_b32_e64 v11, 0, -1, s[2:3]
	v_cmp_le_u32_e64 s[2:3], s24, v10
	s_nop 1
	v_cndmask_b32_e64 v10, 0, -1, s[2:3]
	v_cmp_eq_u32_e64 s[2:3], s25, v5
	s_nop 1
	v_cndmask_b32_e64 v5, v11, v10, s[2:3]
	v_lshl_add_u64 v[10:11], v[8:9], 0, 2
	v_cmp_ne_u32_e64 s[2:3], 0, v5
	s_nop 1
	v_cndmask_b32_e64 v5, v13, v11, s[2:3]
	v_cndmask_b32_e64 v11, 0, -1, vcc
	v_cmp_le_u32_e32 vcc, s24, v14
	s_nop 1
	v_cndmask_b32_e64 v13, 0, -1, vcc
	v_cmp_eq_u32_e32 vcc, s25, v1
	s_nop 1
	v_cndmask_b32_e32 v1, v11, v13, vcc
	v_cmp_ne_u32_e32 vcc, 0, v1
	v_cndmask_b32_e64 v1, v12, v10, s[2:3]
	s_nop 0
	v_cndmask_b32_e32 v31, v9, v5, vcc
	v_cndmask_b32_e32 v30, v8, v1, vcc
.LBB0_4:                                ;   in Loop: Header=BB0_2 Depth=1
	s_andn2_saveexec_b64 s[2:3], s[26:27]
	s_cbranch_execz .LBB0_6
; %bb.5:                                ;   in Loop: Header=BB0_2 Depth=1
	v_cvt_f32_u32_e32 v1, s24
	s_sub_i32 s26, 0, s24
	v_mov_b32_e32 v31, v4
	v_rcp_iflag_f32_e32 v1, v1
	s_nop 0
	v_mul_f32_e32 v1, 0x4f7ffffe, v1
	v_cvt_u32_f32_e32 v1, v1
	v_mul_lo_u32 v5, s26, v1
	v_mul_hi_u32 v5, v1, v5
	v_add_u32_e32 v1, v1, v5
	v_mul_hi_u32 v1, v6, v1
	v_mul_lo_u32 v5, v1, s24
	v_sub_u32_e32 v5, v6, v5
	v_add_u32_e32 v8, 1, v1
	v_subrev_u32_e32 v9, s24, v5
	v_cmp_le_u32_e32 vcc, s24, v5
	s_nop 1
	v_cndmask_b32_e32 v5, v5, v9, vcc
	v_cndmask_b32_e32 v1, v1, v8, vcc
	v_add_u32_e32 v8, 1, v1
	v_cmp_le_u32_e32 vcc, s24, v5
	s_nop 1
	v_cndmask_b32_e32 v30, v1, v8, vcc
.LBB0_6:                                ;   in Loop: Header=BB0_2 Depth=1
	s_or_b64 exec, exec, s[2:3]
	v_mad_u64_u32 v[8:9], s[2:3], v30, s24, 0
	s_load_dwordx2 s[2:3], s[18:19], 0x0
	v_mul_lo_u32 v1, v31, s24
	v_mul_lo_u32 v5, v30, s25
	s_load_dwordx2 s[24:25], s[16:17], 0x0
	s_add_u32 s22, s22, 1
	v_add3_u32 v1, v9, v5, v1
	v_sub_co_u32_e32 v5, vcc, v6, v8
	s_addc_u32 s23, s23, 0
	s_nop 0
	v_subb_co_u32_e32 v1, vcc, v7, v1, vcc
	s_add_u32 s16, s16, 8
	s_waitcnt lgkmcnt(0)
	v_mul_lo_u32 v6, s2, v1
	v_mul_lo_u32 v7, s3, v5
	v_mad_u64_u32 v[2:3], s[2:3], s2, v5, v[2:3]
	s_addc_u32 s17, s17, 0
	v_add3_u32 v3, v7, v3, v6
	v_mul_lo_u32 v1, s24, v1
	v_mul_lo_u32 v6, s25, v5
	v_mad_u64_u32 v[28:29], s[2:3], s24, v5, v[28:29]
	s_add_u32 s18, s18, 8
	v_add3_u32 v29, v6, v29, v1
	s_addc_u32 s19, s19, 0
	v_mov_b64_e32 v[6:7], s[10:11]
	s_add_u32 s20, s20, 8
	v_cmp_ge_u64_e32 vcc, s[22:23], v[6:7]
	s_addc_u32 s21, s21, 0
	s_cbranch_vccnz .LBB0_9
; %bb.7:                                ;   in Loop: Header=BB0_2 Depth=1
	v_mov_b64_e32 v[6:7], v[30:31]
	s_branch .LBB0_2
.LBB0_8:
	v_mov_b64_e32 v[28:29], v[2:3]
	v_mov_b64_e32 v[30:31], v[6:7]
.LBB0_9:
	s_load_dwordx2 s[2:3], s[0:1], 0x28
	s_lshl_b64 s[16:17], s[10:11], 3
	s_add_u32 s10, s14, s16
	s_addc_u32 s11, s15, s17
                                        ; implicit-def: $vgpr32
	s_waitcnt lgkmcnt(0)
	v_cmp_gt_u64_e64 s[0:1], s[2:3], v[30:31]
	v_cmp_le_u64_e32 vcc, s[2:3], v[30:31]
	s_and_saveexec_b64 s[2:3], vcc
	s_xor_b64 s[2:3], exec, s[2:3]
; %bb.10:
	s_mov_b32 s14, 0x1a98ef7
	v_mul_hi_u32 v1, v0, s14
	v_mul_u32_u24_e32 v1, 0x9a, v1
	v_sub_u32_e32 v32, v0, v1
                                        ; implicit-def: $vgpr0
                                        ; implicit-def: $vgpr2_vgpr3
; %bb.11:
	s_or_saveexec_b64 s[2:3], s[2:3]
	s_load_dwordx2 s[10:11], s[10:11], 0x0
	s_xor_b64 exec, exec, s[2:3]
	s_cbranch_execz .LBB0_15
; %bb.12:
	s_add_u32 s12, s12, s16
	s_addc_u32 s13, s13, s17
	s_load_dwordx2 s[12:13], s[12:13], 0x0
	s_mov_b32 s14, 0x1a98ef7
	s_waitcnt lgkmcnt(0)
	v_mul_lo_u32 v1, s13, v30
	v_mul_lo_u32 v6, s12, v31
	v_mad_u64_u32 v[4:5], s[12:13], s12, v30, 0
	v_add3_u32 v5, v5, v6, v1
	v_mul_hi_u32 v1, v0, s14
	v_mul_u32_u24_e32 v1, 0x9a, v1
	v_sub_u32_e32 v32, v0, v1
	v_lshl_add_u64 v[0:1], v[4:5], 3, s[4:5]
	v_lshl_add_u64 v[2:3], v[2:3], 3, v[0:1]
	v_lshlrev_b32_e32 v0, 3, v32
	v_mov_b32_e32 v1, 0
	v_lshl_add_u64 v[4:5], v[2:3], 0, v[0:1]
	s_movk_i32 s4, 0x1000
	v_add_co_u32_e32 v14, vcc, s4, v4
	s_movk_i32 s4, 0x2000
	s_nop 0
	v_addc_co_u32_e32 v15, vcc, 0, v5, vcc
	v_add_co_u32_e32 v16, vcc, s4, v4
	global_load_dwordx2 v[6:7], v[4:5], off
	global_load_dwordx2 v[8:9], v[4:5], off offset:1232
	global_load_dwordx2 v[10:11], v[4:5], off offset:2464
	;; [unrolled: 1-line block ×3, first 2 shown]
	v_addc_co_u32_e32 v17, vcc, 0, v5, vcc
	v_add_co_u32_e32 v4, vcc, 0x3000, v4
	global_load_dwordx2 v[18:19], v[14:15], off offset:832
	global_load_dwordx2 v[20:21], v[14:15], off offset:2064
	;; [unrolled: 1-line block ×4, first 2 shown]
	v_addc_co_u32_e32 v5, vcc, 0, v5, vcc
	global_load_dwordx2 v[14:15], v[16:17], off offset:1664
	global_load_dwordx2 v[26:27], v[16:17], off offset:2896
	;; [unrolled: 1-line block ×3, first 2 shown]
	s_movk_i32 s4, 0x99
	v_add_u32_e32 v0, 0, v0
	v_cmp_eq_u32_e32 vcc, s4, v32
	v_add_u32_e32 v4, 0x800, v0
	v_add_u32_e32 v5, 0x1200, v0
	;; [unrolled: 1-line block ×4, first 2 shown]
	s_waitcnt vmcnt(9)
	ds_write2_b64 v0, v[6:7], v[8:9] offset1:154
	s_waitcnt vmcnt(7)
	ds_write2_b64 v4, v[10:11], v[12:13] offset0:52 offset1:206
	s_waitcnt vmcnt(5)
	ds_write2_b64 v5, v[18:19], v[20:21] offset0:40 offset1:194
	;; [unrolled: 2-line block ×4, first 2 shown]
	s_waitcnt vmcnt(0)
	ds_write_b64 v0, v[34:35] offset:12320
	s_and_saveexec_b64 s[4:5], vcc
	s_cbranch_execz .LBB0_14
; %bb.13:
	v_add_co_u32_e32 v2, vcc, 0x3000, v2
	v_mov_b32_e32 v32, 0x99
	s_nop 0
	v_addc_co_u32_e32 v3, vcc, 0, v3, vcc
	global_load_dwordx2 v[2:3], v[2:3], off offset:1264
	s_waitcnt vmcnt(0)
	ds_write_b64 v1, v[2:3] offset:13552
.LBB0_14:
	s_or_b64 exec, exec, s[4:5]
.LBB0_15:
	s_or_b64 exec, exec, s[2:3]
	v_lshlrev_b32_e32 v0, 3, v32
	v_add_u32_e32 v40, 0, v0
	s_waitcnt lgkmcnt(0)
	s_barrier
	v_sub_u32_e32 v4, 0, v0
	ds_read_b32 v0, v40
	ds_read_b32 v1, v4 offset:13552
	s_add_u32 s2, s8, 0x3498
	s_addc_u32 s3, s9, 0
	v_cmp_ne_u32_e32 vcc, 0, v32
	s_waitcnt lgkmcnt(0)
	v_add_f32_e32 v2, v1, v0
	v_sub_f32_e32 v3, v0, v1
                                        ; implicit-def: $vgpr0_vgpr1
	s_and_saveexec_b64 s[4:5], vcc
	s_xor_b64 s[4:5], exec, s[4:5]
	s_cbranch_execz .LBB0_17
; %bb.16:
	v_mov_b32_e32 v33, 0
	v_lshl_add_u64 v[0:1], v[32:33], 3, s[2:3]
	global_load_dwordx2 v[6:7], v[0:1], off
	ds_read_b32 v5, v4 offset:13556
	ds_read_b32 v11, v40 offset:4
	v_mov_b32_e32 v8, v3
	v_mov_b32_e32 v10, v2
	;; [unrolled: 1-line block ×3, first 2 shown]
	v_mov_b64_e32 v[0:1], v[32:33]
	s_waitcnt lgkmcnt(0)
	v_add_f32_e32 v9, v5, v11
	v_sub_f32_e32 v11, v11, v5
	v_mov_b32_e32 v12, v9
	s_waitcnt vmcnt(0)
	v_pk_mul_f32 v[14:15], v[8:9], v[6:7] op_sel:[0,1]
	v_pk_fma_f32 v[8:9], v[8:9], v[6:7], v[10:11] op_sel:[0,1,0]
	v_mov_b32_e32 v3, v15
	v_mov_b32_e32 v15, v11
	v_pk_fma_f32 v[16:17], v[6:7], v[12:13], v[8:9] neg_lo:[1,0,0] neg_hi:[1,0,0]
	v_pk_fma_f32 v[8:9], v[6:7], v[12:13], v[8:9] op_sel_hi:[0,1,1]
	v_pk_add_f32 v[2:3], v[2:3], v[14:15] neg_lo:[0,1] neg_hi:[0,1]
	v_mov_b32_e32 v17, v9
	v_pk_fma_f32 v[2:3], v[6:7], v[12:13], v[2:3] op_sel_hi:[0,1,1]
	ds_write_b64 v4, v[2:3] offset:13552
	v_mov_b64_e32 v[2:3], v[16:17]
.LBB0_17:
	s_andn2_saveexec_b64 s[4:5], s[4:5]
	s_cbranch_execz .LBB0_19
; %bb.18:
	v_mov_b32_e32 v5, 0
	ds_read_b64 v[0:1], v5 offset:6776
	s_mov_b32 s12, 2.0
	s_mov_b32 s13, -2.0
	s_waitcnt lgkmcnt(0)
	v_pk_mul_f32 v[0:1], v[0:1], s[12:13]
	ds_write_b64 v5, v[0:1] offset:6776
	v_mov_b64_e32 v[0:1], 0
.LBB0_19:
	s_or_b64 exec, exec, s[4:5]
	v_lshl_add_u64 v[0:1], v[0:1], 3, s[2:3]
	global_load_dwordx2 v[6:7], v[0:1], off offset:1232
	v_add_u32_e32 v16, 0x134, v32
	v_mov_b32_e32 v17, 0
	v_lshl_add_u64 v[8:9], v[16:17], 3, s[2:3]
	global_load_dwordx2 v[8:9], v[8:9], off
	v_add_u32_e32 v18, 0x1ce, v32
	v_mov_b32_e32 v19, v17
	v_lshl_add_u64 v[10:11], v[18:19], 3, s[2:3]
	global_load_dwordx2 v[10:11], v[10:11], off
	s_movk_i32 s2, 0x1000
	v_add_co_u32_e32 v12, vcc, s2, v0
	ds_write_b64 v40, v[2:3]
	s_nop 0
	v_addc_co_u32_e32 v13, vcc, 0, v1, vcc
	global_load_dwordx2 v[12:13], v[12:13], off offset:832
	ds_read_b64 v[2:3], v4 offset:12320
	ds_read_b64 v[14:15], v40 offset:1232
	v_lshl_add_u32 v35, v16, 3, 0
	v_lshl_add_u32 v36, v18, 3, 0
	s_movk_i32 s2, 0x4d
	v_cmp_gt_u32_e64 s[2:3], s2, v32
	s_waitcnt lgkmcnt(0)
	v_pk_add_f32 v[20:21], v[14:15], v[2:3]
	v_pk_add_f32 v[2:3], v[14:15], v[2:3] neg_lo:[0,1] neg_hi:[0,1]
	v_mov_b32_e32 v14, v21
	v_mov_b32_e32 v15, v2
	;; [unrolled: 1-line block ×3, first 2 shown]
	s_waitcnt vmcnt(3)
	v_pk_mul_f32 v[22:23], v[14:15], v[6:7] op_sel:[0,1]
	s_nop 0
	v_pk_add_f32 v[24:25], v[20:21], v[22:23] op_sel:[0,1] op_sel_hi:[1,0]
	v_mov_b32_e32 v21, v22
	v_mov_b32_e32 v2, v23
	v_pk_fma_f32 v[22:23], v[6:7], v[14:15], v[24:25] neg_lo:[1,0,0] neg_hi:[1,0,0]
	v_pk_fma_f32 v[24:25], v[6:7], v[14:15], v[24:25] op_sel_hi:[0,1,1]
	v_pk_add_f32 v[2:3], v[20:21], v[2:3] neg_lo:[0,1] neg_hi:[0,1]
	v_mov_b32_e32 v23, v25
	v_pk_fma_f32 v[2:3], v[6:7], v[14:15], v[2:3] op_sel_hi:[0,1,1]
	ds_write_b64 v40, v[22:23] offset:1232
	ds_write_b64 v4, v[2:3] offset:12320
	ds_read_b64 v[2:3], v4 offset:11088
	ds_read_b64 v[6:7], v35
	s_waitcnt lgkmcnt(0)
	v_pk_add_f32 v[14:15], v[6:7], v[2:3]
	v_pk_add_f32 v[2:3], v[6:7], v[2:3] neg_lo:[0,1] neg_hi:[0,1]
	v_mov_b32_e32 v6, v15
	v_mov_b32_e32 v7, v2
	;; [unrolled: 1-line block ×3, first 2 shown]
	s_waitcnt vmcnt(2)
	v_pk_mul_f32 v[20:21], v[6:7], v[8:9] op_sel:[0,1]
	s_nop 0
	v_pk_add_f32 v[22:23], v[14:15], v[20:21] op_sel:[0,1] op_sel_hi:[1,0]
	v_mov_b32_e32 v15, v20
	v_mov_b32_e32 v2, v21
	v_pk_fma_f32 v[20:21], v[8:9], v[6:7], v[22:23] neg_lo:[1,0,0] neg_hi:[1,0,0]
	v_pk_fma_f32 v[22:23], v[8:9], v[6:7], v[22:23] op_sel_hi:[0,1,1]
	v_pk_add_f32 v[2:3], v[14:15], v[2:3] neg_lo:[0,1] neg_hi:[0,1]
	v_mov_b32_e32 v21, v23
	v_pk_fma_f32 v[2:3], v[8:9], v[6:7], v[2:3] op_sel_hi:[0,1,1]
	ds_write_b64 v35, v[20:21]
	ds_write_b64 v4, v[2:3] offset:11088
	ds_read_b64 v[2:3], v4 offset:9856
	ds_read_b64 v[6:7], v36
	s_waitcnt lgkmcnt(0)
	v_pk_add_f32 v[8:9], v[6:7], v[2:3]
	v_pk_add_f32 v[2:3], v[6:7], v[2:3] neg_lo:[0,1] neg_hi:[0,1]
	v_mov_b32_e32 v6, v9
	v_mov_b32_e32 v7, v2
	;; [unrolled: 1-line block ×3, first 2 shown]
	s_waitcnt vmcnt(1)
	v_pk_mul_f32 v[14:15], v[6:7], v[10:11] op_sel:[0,1]
	s_nop 0
	v_pk_add_f32 v[20:21], v[8:9], v[14:15] op_sel:[0,1] op_sel_hi:[1,0]
	v_mov_b32_e32 v9, v14
	v_mov_b32_e32 v2, v15
	v_pk_fma_f32 v[14:15], v[10:11], v[6:7], v[20:21] neg_lo:[1,0,0] neg_hi:[1,0,0]
	v_pk_fma_f32 v[20:21], v[10:11], v[6:7], v[20:21] op_sel_hi:[0,1,1]
	v_pk_add_f32 v[2:3], v[8:9], v[2:3] neg_lo:[0,1] neg_hi:[0,1]
	v_mov_b32_e32 v15, v21
	v_pk_fma_f32 v[2:3], v[10:11], v[6:7], v[2:3] op_sel_hi:[0,1,1]
	ds_write_b64 v36, v[14:15]
	ds_write_b64 v4, v[2:3] offset:9856
	ds_read_b64 v[2:3], v4 offset:8624
	ds_read_b64 v[6:7], v40 offset:4928
	s_waitcnt lgkmcnt(0)
	v_pk_add_f32 v[8:9], v[6:7], v[2:3]
	v_pk_add_f32 v[2:3], v[6:7], v[2:3] neg_lo:[0,1] neg_hi:[0,1]
	v_mov_b32_e32 v6, v9
	v_mov_b32_e32 v7, v2
	;; [unrolled: 1-line block ×3, first 2 shown]
	s_waitcnt vmcnt(0)
	v_pk_mul_f32 v[10:11], v[6:7], v[12:13] op_sel:[0,1]
	s_nop 0
	v_pk_add_f32 v[14:15], v[8:9], v[10:11] op_sel:[0,1] op_sel_hi:[1,0]
	v_mov_b32_e32 v9, v10
	v_mov_b32_e32 v2, v11
	v_pk_fma_f32 v[10:11], v[12:13], v[6:7], v[14:15] neg_lo:[1,0,0] neg_hi:[1,0,0]
	v_pk_fma_f32 v[14:15], v[12:13], v[6:7], v[14:15] op_sel_hi:[0,1,1]
	v_pk_add_f32 v[2:3], v[8:9], v[2:3] neg_lo:[0,1] neg_hi:[0,1]
	v_mov_b32_e32 v11, v15
	v_pk_fma_f32 v[2:3], v[12:13], v[6:7], v[2:3] op_sel_hi:[0,1,1]
	ds_write_b64 v40, v[10:11] offset:4928
	ds_write_b64 v4, v[2:3] offset:8624
	s_and_saveexec_b64 s[4:5], s[2:3]
	s_cbranch_execz .LBB0_21
; %bb.20:
	v_add_co_u32_e32 v0, vcc, 0x1000, v0
	s_nop 1
	v_addc_co_u32_e32 v1, vcc, 0, v1, vcc
	global_load_dwordx2 v[0:1], v[0:1], off offset:2064
	ds_read_b64 v[2:3], v4 offset:7392
	ds_read_b64 v[6:7], v40 offset:6160
	s_waitcnt lgkmcnt(0)
	v_pk_add_f32 v[8:9], v[6:7], v[2:3]
	v_pk_add_f32 v[2:3], v[6:7], v[2:3] neg_lo:[0,1] neg_hi:[0,1]
	v_mov_b32_e32 v6, v9
	v_mov_b32_e32 v7, v2
	;; [unrolled: 1-line block ×3, first 2 shown]
	s_waitcnt vmcnt(0)
	v_pk_mul_f32 v[10:11], v[6:7], v[0:1] op_sel:[0,1]
	s_nop 0
	v_pk_add_f32 v[12:13], v[8:9], v[10:11] op_sel:[0,1] op_sel_hi:[1,0]
	v_mov_b32_e32 v9, v10
	v_mov_b32_e32 v2, v11
	v_pk_fma_f32 v[10:11], v[0:1], v[6:7], v[12:13] neg_lo:[1,0,0] neg_hi:[1,0,0]
	v_pk_fma_f32 v[12:13], v[0:1], v[6:7], v[12:13] op_sel_hi:[0,1,1]
	v_pk_add_f32 v[2:3], v[8:9], v[2:3] neg_lo:[0,1] neg_hi:[0,1]
	v_mov_b32_e32 v11, v13
	v_pk_fma_f32 v[0:1], v[0:1], v[6:7], v[2:3] op_sel_hi:[0,1,1]
	ds_write_b64 v40, v[10:11] offset:6160
	ds_write_b64 v4, v[0:1] offset:7392
.LBB0_21:
	s_or_b64 exec, exec, s[4:5]
	v_add_u32_e32 v4, 0x800, v40
	s_waitcnt lgkmcnt(0)
	s_barrier
	s_barrier
	ds_read2_b64 v[8:11], v4 offset0:52 offset1:206
	v_add_u32_e32 v4, 0x1200, v40
	ds_read2_b64 v[0:3], v40 offset1:154
	ds_read2_b64 v[12:15], v4 offset0:40 offset1:194
	ds_read_b64 v[38:39], v40 offset:12320
	v_add_u32_e32 v4, 0x1c00, v40
	ds_read2_b64 v[20:23], v4 offset0:28 offset1:182
	v_add_u32_e32 v4, 0x2400, v40
	ds_read2_b64 v[24:27], v4 offset0:80 offset1:234
	s_waitcnt lgkmcnt(2)
	v_pk_add_f32 v[42:43], v[38:39], v[2:3]
	v_pk_add_f32 v[44:45], v[2:3], v[38:39] neg_lo:[0,1] neg_hi:[0,1]
	v_pk_add_f32 v[2:3], v[0:1], v[2:3]
	s_mov_b32 s18, 0xbf0a6770
	v_pk_add_f32 v[2:3], v[2:3], v[8:9]
	s_mov_b32 s12, 0x3f575c64
	v_pk_add_f32 v[2:3], v[2:3], v[10:11]
	v_pk_mul_f32 v[6:7], v[44:45], s[18:19] op_sel_hi:[1,0]
	v_pk_add_f32 v[2:3], v[2:3], v[12:13]
	s_waitcnt lgkmcnt(0)
	v_pk_add_f32 v[50:51], v[8:9], v[26:27] neg_lo:[0,1] neg_hi:[0,1]
	s_mov_b32 s28, 0xbf68dda4
	v_pk_add_f32 v[2:3], v[2:3], v[14:15]
	v_pk_fma_f32 v[4:5], v[42:43], s[12:13], v[6:7] op_sel:[0,0,1] op_sel_hi:[1,0,0]
	v_pk_fma_f32 v[46:47], v[42:43], s[12:13], v[6:7] op_sel:[0,0,1] op_sel_hi:[1,0,0] neg_lo:[0,0,1] neg_hi:[0,0,1]
	v_pk_add_f32 v[48:49], v[26:27], v[8:9]
	s_mov_b32 s4, 0x3ed4b147
	v_pk_mul_f32 v[52:53], v[50:51], s[28:29] op_sel_hi:[1,0]
	v_pk_add_f32 v[60:61], v[10:11], v[24:25] neg_lo:[0,1] neg_hi:[0,1]
	s_mov_b32 s16, 0xbf7d64f0
	v_pk_add_f32 v[2:3], v[2:3], v[20:21]
	v_mov_b32_e32 v7, v47
	v_pk_fma_f32 v[54:55], v[48:49], s[4:5], v[52:53] op_sel:[0,0,1] op_sel_hi:[1,0,0]
	v_pk_fma_f32 v[52:53], v[48:49], s[4:5], v[52:53] op_sel:[0,0,1] op_sel_hi:[1,0,0] neg_lo:[0,0,1] neg_hi:[0,0,1]
	v_pk_add_f32 v[58:59], v[24:25], v[10:11]
	s_mov_b32 s14, 0xbe11bafb
	v_pk_mul_f32 v[62:63], v[60:61], s[16:17] op_sel_hi:[1,0]
	v_pk_add_f32 v[8:9], v[12:13], v[22:23] neg_lo:[0,1] neg_hi:[0,1]
	s_mov_b32 s22, 0xbf4178ce
	v_pk_add_f32 v[2:3], v[2:3], v[22:23]
	v_mov_b32_e32 v47, v5
	v_mov_b32_e32 v57, v53
	v_pk_fma_f32 v[64:65], v[58:59], s[14:15], v[62:63] op_sel:[0,0,1] op_sel_hi:[1,0,0]
	v_pk_fma_f32 v[62:63], v[58:59], s[14:15], v[62:63] op_sel:[0,0,1] op_sel_hi:[1,0,0] neg_lo:[0,0,1] neg_hi:[0,0,1]
	v_pk_add_f32 v[66:67], v[22:23], v[12:13]
	v_pk_add_f32 v[10:11], v[20:21], v[14:15]
	v_pk_add_f32 v[12:13], v[14:15], v[20:21] neg_lo:[0,1] neg_hi:[0,1]
	s_mov_b32 s20, 0xbf27a4f4
	v_pk_mul_f32 v[20:21], v[8:9], s[22:23] op_sel_hi:[1,0]
	v_pk_add_f32 v[2:3], v[2:3], v[24:25]
	s_mov_b32 s26, 0xbe903f40
	v_pk_add_f32 v[46:47], v[0:1], v[46:47]
	v_mov_b32_e32 v53, v55
	v_mov_b32_e32 v15, v63
	v_pk_fma_f32 v[22:23], v[66:67], s[20:21], v[20:21] op_sel:[0,0,1] op_sel_hi:[1,0,0]
	v_pk_fma_f32 v[20:21], v[66:67], s[20:21], v[20:21] op_sel:[0,0,1] op_sel_hi:[1,0,0] neg_lo:[0,0,1] neg_hi:[0,0,1]
	v_pk_add_f32 v[2:3], v[2:3], v[26:27]
	s_mov_b32 s24, 0xbf75a155
	v_pk_mul_f32 v[26:27], v[12:13], s[26:27] op_sel_hi:[1,0]
	v_pk_add_f32 v[46:47], v[52:53], v[46:47]
	v_mov_b32_e32 v63, v65
	v_mov_b32_e32 v25, v21
	v_pk_add_f32 v[2:3], v[2:3], v[38:39]
	v_pk_fma_f32 v[38:39], v[10:11], s[24:25], v[26:27] op_sel:[0,0,1] op_sel_hi:[1,0,0]
	v_pk_fma_f32 v[26:27], v[10:11], s[24:25], v[26:27] op_sel:[0,0,1] op_sel_hi:[1,0,0] neg_lo:[0,0,1] neg_hi:[0,0,1]
	v_pk_add_f32 v[46:47], v[62:63], v[46:47]
	v_mov_b32_e32 v21, v23
	v_mov_b32_e32 v5, v27
	s_movk_i32 s5, 0x50
	v_pk_add_f32 v[20:21], v[20:21], v[46:47]
	v_mov_b32_e32 v27, v39
	v_mad_u32_u24 v17, v32, s5, v40
	v_pk_add_f32 v[20:21], v[26:27], v[20:21]
	s_barrier
	ds_write2_b64 v17, v[2:3], v[20:21] offset1:1
	v_pk_mul_f32 v[2:3], v[44:45], s[28:29] op_sel_hi:[1,0]
	v_pk_mul_f32 v[46:47], v[50:51], s[22:23] op_sel_hi:[1,0]
	v_pk_fma_f32 v[26:27], v[42:43], s[4:5], v[2:3] op_sel:[0,0,1] op_sel_hi:[1,0,0] neg_lo:[0,0,1] neg_hi:[0,0,1]
	v_pk_fma_f32 v[2:3], v[42:43], s[4:5], v[2:3] op_sel:[0,0,1] op_sel_hi:[1,0,0]
	v_mov_b32_e32 v20, v26
	v_mov_b32_e32 v21, v3
	v_pk_fma_f32 v[52:53], v[48:49], s[20:21], v[46:47] op_sel:[0,0,1] op_sel_hi:[1,0,0] neg_lo:[0,0,1] neg_hi:[0,0,1]
	v_pk_fma_f32 v[46:47], v[48:49], s[20:21], v[46:47] op_sel:[0,0,1] op_sel_hi:[1,0,0]
	v_pk_add_f32 v[20:21], v[0:1], v[20:21]
	v_mov_b32_e32 v62, v52
	v_mov_b32_e32 v63, v47
	s_mov_b32 s28, 0x3e903f40
	v_pk_add_f32 v[20:21], v[62:63], v[20:21]
	v_pk_mul_f32 v[62:63], v[60:61], s[28:29] op_sel_hi:[1,0]
	s_mov_b32 s30, 0x3f7d64f0
	v_pk_fma_f32 v[68:69], v[58:59], s[24:25], v[62:63] op_sel:[0,0,1] op_sel_hi:[1,0,0] neg_lo:[0,0,1] neg_hi:[0,0,1]
	v_pk_fma_f32 v[62:63], v[58:59], s[24:25], v[62:63] op_sel:[0,0,1] op_sel_hi:[1,0,0]
	v_mov_b32_e32 v70, v68
	v_mov_b32_e32 v71, v63
	v_pk_add_f32 v[20:21], v[70:71], v[20:21]
	v_pk_mul_f32 v[70:71], v[8:9], s[30:31] op_sel_hi:[1,0]
	s_mov_b32 s34, 0x3f0a6770
	v_pk_fma_f32 v[72:73], v[66:67], s[14:15], v[70:71] op_sel:[0,0,1] op_sel_hi:[1,0,0] neg_lo:[0,0,1] neg_hi:[0,0,1]
	v_pk_fma_f32 v[70:71], v[66:67], s[14:15], v[70:71] op_sel:[0,0,1] op_sel_hi:[1,0,0]
	v_mov_b32_e32 v74, v72
	v_mov_b32_e32 v75, v71
	v_pk_add_f32 v[20:21], v[74:75], v[20:21]
	v_pk_mul_f32 v[74:75], v[12:13], s[34:35] op_sel_hi:[1,0]
	v_pk_mul_f32 v[84:85], v[50:51], s[28:29] op_sel_hi:[1,0]
	v_pk_fma_f32 v[76:77], v[10:11], s[12:13], v[74:75] op_sel:[0,0,1] op_sel_hi:[1,0,0] neg_lo:[0,0,1] neg_hi:[0,0,1]
	v_pk_fma_f32 v[74:75], v[10:11], s[12:13], v[74:75] op_sel:[0,0,1] op_sel_hi:[1,0,0]
	v_mov_b32_e32 v78, v76
	v_mov_b32_e32 v79, v75
	v_pk_add_f32 v[20:21], v[78:79], v[20:21]
	v_pk_mul_f32 v[78:79], v[44:45], s[16:17] op_sel_hi:[1,0]
	v_pk_fma_f32 v[86:87], v[48:49], s[24:25], v[84:85] op_sel:[0,0,1] op_sel_hi:[1,0,0] neg_lo:[0,0,1] neg_hi:[0,0,1]
	v_pk_fma_f32 v[80:81], v[42:43], s[14:15], v[78:79] op_sel:[0,0,1] op_sel_hi:[1,0,0] neg_lo:[0,0,1] neg_hi:[0,0,1]
	v_pk_fma_f32 v[78:79], v[42:43], s[14:15], v[78:79] op_sel:[0,0,1] op_sel_hi:[1,0,0]
	v_mov_b32_e32 v82, v80
	v_mov_b32_e32 v83, v79
	v_pk_fma_f32 v[84:85], v[48:49], s[24:25], v[84:85] op_sel:[0,0,1] op_sel_hi:[1,0,0]
	v_pk_add_f32 v[82:83], v[0:1], v[82:83]
	v_mov_b32_e32 v88, v86
	v_mov_b32_e32 v89, v85
	s_mov_b32 s28, 0x3f68dda4
	v_pk_add_f32 v[82:83], v[88:89], v[82:83]
	v_pk_mul_f32 v[88:89], v[60:61], s[28:29] op_sel_hi:[1,0]
	v_pk_mul_f32 v[102:103], v[50:51], s[30:31] op_sel_hi:[1,0]
	v_pk_fma_f32 v[90:91], v[58:59], s[4:5], v[88:89] op_sel:[0,0,1] op_sel_hi:[1,0,0] neg_lo:[0,0,1] neg_hi:[0,0,1]
	v_pk_fma_f32 v[88:89], v[58:59], s[4:5], v[88:89] op_sel:[0,0,1] op_sel_hi:[1,0,0]
	v_mov_b32_e32 v92, v90
	v_mov_b32_e32 v93, v89
	v_pk_add_f32 v[82:83], v[92:93], v[82:83]
	v_pk_mul_f32 v[92:93], v[8:9], s[18:19] op_sel_hi:[1,0]
	v_pk_fma_f32 v[104:105], v[48:49], s[14:15], v[102:103] op_sel:[0,0,1] op_sel_hi:[1,0,0] neg_lo:[0,0,1] neg_hi:[0,0,1]
	v_pk_fma_f32 v[94:95], v[66:67], s[12:13], v[92:93] op_sel:[0,0,1] op_sel_hi:[1,0,0] neg_lo:[0,0,1] neg_hi:[0,0,1]
	v_pk_fma_f32 v[92:93], v[66:67], s[12:13], v[92:93] op_sel:[0,0,1] op_sel_hi:[1,0,0]
	v_mov_b32_e32 v96, v94
	v_mov_b32_e32 v97, v93
	v_pk_add_f32 v[82:83], v[96:97], v[82:83]
	v_pk_mul_f32 v[96:97], v[12:13], s[22:23] op_sel_hi:[1,0]
	v_pk_fma_f32 v[102:103], v[48:49], s[14:15], v[102:103] op_sel:[0,0,1] op_sel_hi:[1,0,0]
	v_pk_fma_f32 v[98:99], v[10:11], s[20:21], v[96:97] op_sel:[0,0,1] op_sel_hi:[1,0,0] neg_lo:[0,0,1] neg_hi:[0,0,1]
	v_pk_fma_f32 v[96:97], v[10:11], s[20:21], v[96:97] op_sel:[0,0,1] op_sel_hi:[1,0,0]
	v_mov_b32_e32 v100, v98
	v_mov_b32_e32 v101, v97
	v_pk_add_f32 v[82:83], v[100:101], v[82:83]
	ds_write2_b64 v17, v[20:21], v[82:83] offset0:2 offset1:3
	v_pk_mul_f32 v[20:21], v[44:45], s[22:23] op_sel_hi:[1,0]
	v_mov_b32_e32 v106, v104
	v_pk_fma_f32 v[82:83], v[42:43], s[20:21], v[20:21] op_sel:[0,0,1] op_sel_hi:[1,0,0] neg_lo:[0,0,1] neg_hi:[0,0,1]
	v_pk_fma_f32 v[100:101], v[42:43], s[20:21], v[20:21] op_sel:[0,0,1] op_sel_hi:[1,0,0]
	v_mov_b32_e32 v20, v82
	v_mov_b32_e32 v21, v101
	v_pk_add_f32 v[20:21], v[0:1], v[20:21]
	v_mov_b32_e32 v107, v103
	v_pk_add_f32 v[20:21], v[106:107], v[20:21]
	v_pk_mul_f32 v[106:107], v[60:61], s[18:19] op_sel_hi:[1,0]
	v_pk_mul_f32 v[44:45], v[44:45], s[26:27] op_sel_hi:[1,0]
	v_pk_fma_f32 v[108:109], v[58:59], s[12:13], v[106:107] op_sel:[0,0,1] op_sel_hi:[1,0,0] neg_lo:[0,0,1] neg_hi:[0,0,1]
	v_pk_fma_f32 v[106:107], v[58:59], s[12:13], v[106:107] op_sel:[0,0,1] op_sel_hi:[1,0,0]
	v_mov_b32_e32 v110, v108
	v_mov_b32_e32 v111, v107
	v_pk_add_f32 v[20:21], v[110:111], v[20:21]
	v_pk_mul_f32 v[110:111], v[8:9], s[26:27] op_sel_hi:[1,0]
	v_pk_mul_f32 v[60:61], v[60:61], s[22:23] op_sel_hi:[1,0]
	v_pk_fma_f32 v[112:113], v[66:67], s[24:25], v[110:111] op_sel:[0,0,1] op_sel_hi:[1,0,0] neg_lo:[0,0,1] neg_hi:[0,0,1]
	v_pk_fma_f32 v[110:111], v[66:67], s[24:25], v[110:111] op_sel:[0,0,1] op_sel_hi:[1,0,0]
	v_mov_b32_e32 v114, v112
	v_mov_b32_e32 v115, v111
	v_pk_add_f32 v[20:21], v[114:115], v[20:21]
	v_pk_mul_f32 v[114:115], v[12:13], s[28:29] op_sel_hi:[1,0]
	v_pk_mul_f32 v[8:9], v[8:9], s[28:29] op_sel_hi:[1,0]
	v_pk_fma_f32 v[116:117], v[10:11], s[4:5], v[114:115] op_sel:[0,0,1] op_sel_hi:[1,0,0] neg_lo:[0,0,1] neg_hi:[0,0,1]
	v_pk_fma_f32 v[114:115], v[10:11], s[4:5], v[114:115] op_sel:[0,0,1] op_sel_hi:[1,0,0]
	v_mov_b32_e32 v118, v116
	v_mov_b32_e32 v119, v115
	v_pk_add_f32 v[20:21], v[118:119], v[20:21]
	v_pk_fma_f32 v[118:119], v[42:43], s[24:25], v[44:45] op_sel:[0,0,1] op_sel_hi:[1,0,0] neg_lo:[0,0,1] neg_hi:[0,0,1]
	v_pk_fma_f32 v[42:43], v[42:43], s[24:25], v[44:45] op_sel:[0,0,1] op_sel_hi:[1,0,0]
	v_pk_mul_f32 v[44:45], v[50:51], s[34:35] op_sel_hi:[1,0]
	v_mov_b32_e32 v6, v4
	v_pk_fma_f32 v[50:51], v[48:49], s[12:13], v[44:45] op_sel:[0,0,1] op_sel_hi:[1,0,0] neg_lo:[0,0,1] neg_hi:[0,0,1]
	v_pk_fma_f32 v[44:45], v[48:49], s[12:13], v[44:45] op_sel:[0,0,1] op_sel_hi:[1,0,0]
	v_mov_b32_e32 v48, v118
	v_mov_b32_e32 v49, v43
	v_pk_add_f32 v[48:49], v[0:1], v[48:49]
	v_mov_b32_e32 v120, v50
	v_mov_b32_e32 v121, v45
	v_pk_add_f32 v[48:49], v[120:121], v[48:49]
	v_pk_fma_f32 v[120:121], v[58:59], s[20:21], v[60:61] op_sel:[0,0,1] op_sel_hi:[1,0,0] neg_lo:[0,0,1] neg_hi:[0,0,1]
	v_pk_fma_f32 v[58:59], v[58:59], s[20:21], v[60:61] op_sel:[0,0,1] op_sel_hi:[1,0,0]
	v_mov_b32_e32 v60, v120
	v_mov_b32_e32 v61, v59
	v_pk_add_f32 v[48:49], v[60:61], v[48:49]
	v_pk_fma_f32 v[60:61], v[66:67], s[4:5], v[8:9] op_sel:[0,0,1] op_sel_hi:[1,0,0] neg_lo:[0,0,1] neg_hi:[0,0,1]
	v_pk_fma_f32 v[8:9], v[66:67], s[4:5], v[8:9] op_sel:[0,0,1] op_sel_hi:[1,0,0]
	v_mov_b32_e32 v66, v60
	v_mov_b32_e32 v67, v9
	v_pk_mul_f32 v[12:13], v[12:13], s[16:17] op_sel_hi:[1,0]
	v_mov_b32_e32 v56, v54
	v_pk_add_f32 v[6:7], v[0:1], v[6:7]
	v_pk_add_f32 v[48:49], v[66:67], v[48:49]
	v_pk_fma_f32 v[66:67], v[10:11], s[14:15], v[12:13] op_sel:[0,0,1] op_sel_hi:[1,0,0] neg_lo:[0,0,1] neg_hi:[0,0,1]
	v_pk_fma_f32 v[10:11], v[10:11], s[14:15], v[12:13] op_sel:[0,0,1] op_sel_hi:[1,0,0]
	v_pk_add_f32 v[6:7], v[56:57], v[6:7]
	v_mov_b32_e32 v14, v64
	v_mov_b32_e32 v12, v66
	v_mov_b32_e32 v13, v11
	v_pk_add_f32 v[6:7], v[14:15], v[6:7]
	v_mov_b32_e32 v24, v22
	v_pk_add_f32 v[12:13], v[12:13], v[48:49]
	v_pk_add_f32 v[6:7], v[24:25], v[6:7]
	v_mov_b32_e32 v4, v38
	v_mov_b32_e32 v43, v119
	;; [unrolled: 1-line block ×3, first 2 shown]
	ds_write2_b64 v17, v[20:21], v[12:13] offset0:4 offset1:5
	v_pk_add_f32 v[20:21], v[4:5], v[6:7]
	v_mov_b32_e32 v45, v51
	v_pk_add_f32 v[4:5], v[0:1], v[42:43]
	v_mov_b32_e32 v103, v105
	v_pk_add_f32 v[6:7], v[0:1], v[100:101]
	v_pk_add_f32 v[4:5], v[44:45], v[4:5]
	v_mov_b32_e32 v59, v121
	v_pk_add_f32 v[6:7], v[102:103], v[6:7]
	v_mov_b32_e32 v107, v109
	;; [unrolled: 2-line block ×6, first 2 shown]
	v_pk_add_f32 v[4:5], v[10:11], v[4:5]
	v_pk_add_f32 v[6:7], v[114:115], v[6:7]
	v_mov_b32_e32 v79, v81
	v_mov_b32_e32 v3, v27
	ds_write2_b64 v17, v[4:5], v[6:7] offset0:6 offset1:7
	v_pk_add_f32 v[4:5], v[0:1], v[78:79]
	v_mov_b32_e32 v85, v87
	v_pk_add_f32 v[0:1], v[0:1], v[2:3]
	v_mov_b32_e32 v47, v53
	;; [unrolled: 2-line block ×8, first 2 shown]
	v_pk_add_f32 v[4:5], v[96:97], v[4:5]
	v_pk_add_f32 v[0:1], v[74:75], v[0:1]
	ds_write2_b64 v17, v[4:5], v[0:1] offset0:8 offset1:9
	ds_write_b64 v17, v[20:21] offset:80
	v_add_u32_e32 v0, 0x1300, v40
	s_waitcnt lgkmcnt(0)
	s_barrier
	ds_read2_b64 v[8:11], v0 offset0:8 offset1:239
	v_add_u32_e32 v0, 0x1e00, v40
	ds_read2_b64 v[4:7], v40 offset1:154
	ds_read2_b64 v[0:3], v0 offset0:41 offset1:195
	ds_read_b64 v[22:23], v35
	ds_read_b64 v[24:25], v36
	v_add_u32_e32 v12, 0x2800, v40
	ds_read2_b64 v[12:15], v12 offset0:29 offset1:183
                                        ; implicit-def: $vgpr34
                                        ; implicit-def: $vgpr26
	s_and_saveexec_b64 s[4:5], s[2:3]
	s_cbranch_execz .LBB0_23
; %bb.22:
	s_movk_i32 s12, 0xffb0
	v_mad_i32_i24 v17, v32, s12, v17
	ds_read_b64 v[26:27], v40 offset:12936
	ds_read_b64 v[20:21], v17 offset:6160
	s_waitcnt lgkmcnt(1)
	v_mov_b32_e32 v34, v27
.LBB0_23:
	s_or_b64 exec, exec, s[4:5]
	s_mov_b32 s4, 0xba2f
	v_mul_u32_u24_sdwa v38, v16, s4 dst_sel:DWORD dst_unused:UNUSED_PAD src0_sel:WORD_0 src1_sel:DWORD
	v_lshrrev_b32_e32 v39, 19, v38
	v_mul_lo_u16_e32 v38, 11, v39
	v_sub_u16_e32 v38, v16, v38
	v_mul_u32_u24_sdwa v16, v18, s4 dst_sel:DWORD dst_unused:UNUSED_PAD src0_sel:WORD_0 src1_sel:DWORD
	v_lshrrev_b32_e32 v41, 19, v16
	v_add_u32_e32 v17, 0x268, v32
	v_mul_lo_u16_e32 v16, 11, v41
	v_sub_u16_e32 v42, v18, v16
	v_mul_u32_u24_sdwa v16, v17, s4 dst_sel:DWORD dst_unused:UNUSED_PAD src0_sel:WORD_0 src1_sel:DWORD
	v_lshrrev_b32_e32 v52, 19, v16
	v_add_u32_e32 v33, 0x9a, v32
	v_add_u32_e32 v19, 0x302, v32
	v_mul_lo_u16_e32 v16, 11, v52
	v_mul_u32_u24_sdwa v27, v33, s4 dst_sel:DWORD dst_unused:UNUSED_PAD src0_sel:WORD_0 src1_sel:DWORD
	v_sub_u16_e32 v43, v17, v16
	v_mul_u32_u24_sdwa v16, v19, s4 dst_sel:DWORD dst_unused:UNUSED_PAD src0_sel:WORD_0 src1_sel:DWORD
	s_movk_i32 s4, 0x75
	v_lshlrev_b32_e32 v53, 3, v38
	v_mul_lo_u16_sdwa v38, v32, s4 dst_sel:DWORD dst_unused:UNUSED_PAD src0_sel:BYTE_0 src1_sel:DWORD
	v_sub_u16_sdwa v50, v32, v38 dst_sel:DWORD dst_unused:UNUSED_PAD src0_sel:DWORD src1_sel:BYTE_1
	v_lshrrev_b32_e32 v16, 19, v16
	v_lshrrev_b16_e32 v50, 1, v50
	v_mul_lo_u16_e32 v17, 11, v16
	v_and_b32_e32 v50, 0x7f, v50
	v_lshrrev_b32_e32 v27, 19, v27
	v_sub_u16_e32 v17, v19, v17
	v_add_u16_sdwa v38, v50, v38 dst_sel:DWORD dst_unused:UNUSED_PAD src0_sel:DWORD src1_sel:BYTE_1
	v_mul_lo_u16_e32 v37, 11, v27
	v_lshlrev_b32_e32 v17, 3, v17
	v_lshrrev_b16_e32 v56, 3, v38
	v_sub_u16_e32 v37, v33, v37
	global_load_dwordx2 v[18:19], v17, s[8:9]
	v_lshlrev_b32_e32 v55, 3, v43
	v_mul_lo_u16_e32 v38, 11, v56
	v_lshlrev_b32_e32 v37, 3, v37
	v_lshlrev_b32_e32 v54, 3, v42
	global_load_dwordx2 v[42:43], v55, s[8:9]
	global_load_dwordx2 v[44:45], v54, s[8:9]
	;; [unrolled: 1-line block ×4, first 2 shown]
	v_sub_u16_e32 v50, v32, v38
	v_mov_b32_e32 v38, 3
	v_lshlrev_b32_sdwa v57, v38, v50 dst_sel:DWORD dst_unused:UNUSED_PAD src0_sel:DWORD src1_sel:BYTE_0
	global_load_dwordx2 v[50:51], v57, s[8:9]
	s_mov_b32 s5, 0x5040100
	s_movk_i32 s4, 0xb0
	v_perm_b32 v39, v41, v39, s5
	v_pk_mul_lo_u16 v39, v39, s4 op_sel_hi:[1,0]
	v_mul_u32_u24_e32 v27, 0xb0, v27
	v_mul_u32_u24_e32 v41, 0xb0, v52
	v_and_b32_e32 v52, 0xfff0, v39
	v_lshrrev_b32_e32 v39, 16, v39
	v_add3_u32 v37, 0, v27, v37
	v_add3_u32 v64, 0, v52, v53
	;; [unrolled: 1-line block ×4, first 2 shown]
	v_mul_u32_u24_e32 v27, 0xb0, v56
	v_add3_u32 v65, 0, v27, v57
	s_waitcnt lgkmcnt(0)
	s_barrier
	s_waitcnt vmcnt(5)
	v_pk_mul_f32 v[52:53], v[34:35], v[18:19] op_sel_hi:[0,1]
	v_pk_fma_f32 v[62:63], v[26:27], v[18:19], v[52:53] op_sel:[0,0,1] op_sel_hi:[1,1,0] neg_lo:[0,0,1] neg_hi:[0,0,1]
	s_waitcnt vmcnt(4)
	v_pk_mul_f32 v[54:55], v[42:43], v[14:15] op_sel:[0,1]
	s_waitcnt vmcnt(3)
	v_pk_mul_f32 v[56:57], v[44:45], v[12:13] op_sel:[0,1]
	;; [unrolled: 2-line block ×4, first 2 shown]
	v_pk_fma_f32 v[18:19], v[26:27], v[18:19], v[52:53] op_sel:[0,0,1] op_sel_hi:[0,1,0]
	v_pk_fma_f32 v[26:27], v[42:43], v[14:15], v[54:55] op_sel:[0,0,1] op_sel_hi:[1,1,0] neg_lo:[0,0,1] neg_hi:[0,0,1]
	v_pk_fma_f32 v[14:15], v[42:43], v[14:15], v[54:55] op_sel:[0,0,1] op_sel_hi:[1,0,0]
	v_pk_fma_f32 v[42:43], v[44:45], v[12:13], v[56:57] op_sel:[0,0,1] op_sel_hi:[1,1,0] neg_lo:[0,0,1] neg_hi:[0,0,1]
	;; [unrolled: 2-line block ×4, first 2 shown]
	v_pk_fma_f32 v[0:1], v[48:49], v[0:1], v[60:61] op_sel:[0,0,1] op_sel_hi:[1,0,0]
	v_mov_b32_e32 v27, v15
	v_mov_b32_e32 v43, v13
	;; [unrolled: 1-line block ×3, first 2 shown]
	v_pk_add_f32 v[0:1], v[8:9], v[26:27] neg_lo:[0,1] neg_hi:[0,1]
	s_waitcnt vmcnt(0)
	v_pk_mul_f32 v[26:27], v[50:51], v[10:11] op_sel:[0,1]
	v_pk_add_f32 v[12:13], v[24:25], v[42:43] neg_lo:[0,1] neg_hi:[0,1]
	v_pk_fma_f32 v[42:43], v[50:51], v[10:11], v[26:27] op_sel:[0,0,1] op_sel_hi:[1,1,0] neg_lo:[0,0,1] neg_hi:[0,0,1]
	v_pk_fma_f32 v[10:11], v[50:51], v[10:11], v[26:27] op_sel:[0,0,1] op_sel_hi:[1,0,0]
	v_mov_b32_e32 v63, v19
	v_mov_b32_e32 v43, v11
	v_mov_b32_e32 v45, v3
	v_pk_add_f32 v[10:11], v[4:5], v[42:43] neg_lo:[0,1] neg_hi:[0,1]
	v_pk_add_f32 v[2:3], v[20:21], v[62:63] neg_lo:[0,1] neg_hi:[0,1]
	;; [unrolled: 1-line block ×4, first 2 shown]
	v_pk_fma_f32 v[4:5], v[4:5], 2.0, v[10:11] op_sel_hi:[1,0,1] neg_lo:[0,0,1] neg_hi:[0,0,1]
	v_pk_fma_f32 v[8:9], v[8:9], 2.0, v[0:1] op_sel_hi:[1,0,1] neg_lo:[0,0,1] neg_hi:[0,0,1]
	;; [unrolled: 1-line block ×5, first 2 shown]
	ds_write2_b64 v65, v[4:5], v[10:11] offset1:11
	ds_write2_b64 v37, v[6:7], v[18:19] offset1:11
	;; [unrolled: 1-line block ×5, first 2 shown]
	s_and_saveexec_b64 s[4:5], s[2:3]
	s_cbranch_execz .LBB0_25
; %bb.24:
	v_mul_lo_u16_e32 v0, 22, v16
	v_lshlrev_b32_e32 v0, 3, v0
	v_add3_u32 v4, 0, v17, v0
	v_pk_fma_f32 v[0:1], v[20:21], 2.0, v[2:3] op_sel_hi:[1,0,1] neg_lo:[0,0,1] neg_hi:[0,0,1]
	ds_write2_b64 v4, v[0:1], v[2:3] offset1:11
.LBB0_25:
	s_or_b64 exec, exec, s[4:5]
	v_lshrrev_b16_e32 v0, 1, v32
	v_and_b32_e32 v0, 0x7f, v0
	v_mul_lo_u16_e32 v0, 0xbb, v0
	v_lshrrev_b16_e32 v94, 11, v0
	v_mul_lo_u16_e32 v0, 22, v94
	v_sub_u16_e32 v95, v32, v0
	v_mov_b32_e32 v0, 10
	v_mul_u32_u24_sdwa v0, v95, v0 dst_sel:DWORD dst_unused:UNUSED_PAD src0_sel:BYTE_0 src1_sel:DWORD
	v_lshlrev_b32_e32 v0, 3, v0
	s_waitcnt lgkmcnt(0)
	s_barrier
	global_load_dwordx4 v[20:23], v0, s[8:9] offset:88
	global_load_dwordx4 v[24:27], v0, s[8:9] offset:104
	;; [unrolled: 1-line block ×5, first 2 shown]
	v_add_u32_e32 v34, 0x1200, v40
	ds_read2_b64 v[8:11], v40 offset1:154
	v_add_u32_e32 v39, 0x2400, v40
	v_add_u32_e32 v41, 0x1c00, v40
	ds_read_b64 v[0:1], v36
	ds_read_b64 v[50:51], v35
	ds_read_b64 v[52:53], v40 offset:12320
	ds_read2_b64 v[34:37], v34 offset0:40 offset1:194
	ds_read2_b64 v[42:45], v39 offset0:80 offset1:234
	;; [unrolled: 1-line block ×3, first 2 shown]
	s_mov_b32 s14, 0x3f575c64
	s_mov_b32 s2, 0xbf75a155
	;; [unrolled: 1-line block ×11, first 2 shown]
	s_waitcnt lgkmcnt(0)
	s_barrier
	s_mov_b32 s26, 0x3f68dda4
	s_mov_b32 s34, s26
	;; [unrolled: 1-line block ×8, first 2 shown]
	s_waitcnt vmcnt(4)
	v_mul_f32_e32 v39, v21, v11
	v_mul_f32_e32 v55, v21, v10
	v_mov_b32_e32 v56, v23
	v_mov_b32_e32 v57, v22
	s_waitcnt vmcnt(3)
	v_pk_mul_f32 v[58:59], v[24:25], v[0:1] op_sel:[0,1]
	v_pk_mul_f32 v[60:61], v[26:27], v[34:35] op_sel:[0,1]
	s_waitcnt vmcnt(2)
	v_pk_mul_f32 v[62:63], v[16:17], v[36:37] op_sel:[0,1]
	v_mov_b32_e32 v64, v19
	s_waitcnt vmcnt(1)
	v_pk_mul_f32 v[66:67], v[48:49], v[12:13] op_sel:[0,1]
	v_mov_b32_e32 v68, v15
	s_waitcnt vmcnt(0)
	v_pk_mul_f32 v[70:71], v[44:45], v[4:5] op_sel:[0,1]
	v_fma_f32 v54, v20, v10, -v39
	v_fmac_f32_e32 v55, v20, v11
	v_pk_mul_f32 v[10:11], v[56:57], v[50:51] op_sel:[0,1]
	v_pk_fma_f32 v[56:57], v[24:25], v[0:1], v[58:59] op_sel:[0,0,1] op_sel_hi:[1,1,0] neg_lo:[0,0,1] neg_hi:[0,0,1]
	v_pk_fma_f32 v[0:1], v[24:25], v[0:1], v[58:59] op_sel:[0,0,1] op_sel_hi:[1,0,0]
	v_pk_fma_f32 v[58:59], v[26:27], v[34:35], v[60:61] op_sel:[0,0,1] op_sel_hi:[1,1,0] neg_lo:[0,0,1] neg_hi:[0,0,1]
	v_pk_fma_f32 v[20:21], v[26:27], v[34:35], v[60:61] op_sel:[0,0,1] op_sel_hi:[1,0,0]
	;; [unrolled: 2-line block ×3, first 2 shown]
	v_pk_mul_f32 v[24:25], v[46:47], v[64:65] op_sel_hi:[1,0]
	v_pk_fma_f32 v[36:37], v[48:49], v[12:13], v[66:67] op_sel:[0,0,1] op_sel_hi:[1,1,0] neg_lo:[0,0,1] neg_hi:[0,0,1]
	v_pk_fma_f32 v[12:13], v[48:49], v[12:13], v[66:67] op_sel:[0,0,1] op_sel_hi:[1,0,0]
	v_pk_mul_f32 v[26:27], v[42:43], v[68:69] op_sel_hi:[1,0]
	v_pk_fma_f32 v[48:49], v[44:45], v[4:5], v[70:71] op_sel:[0,0,1] op_sel_hi:[1,1,0] neg_lo:[0,0,1] neg_hi:[0,0,1]
	v_pk_fma_f32 v[4:5], v[44:45], v[4:5], v[70:71] op_sel:[0,0,1] op_sel_hi:[1,0,0]
	v_pk_fma_f32 v[44:45], v[22:23], v[50:51], v[10:11] neg_lo:[0,0,1] neg_hi:[0,0,1]
	v_pk_fma_f32 v[10:11], v[22:23], v[50:51], v[10:11] op_sel_hi:[1,0,1]
	v_mov_b32_e32 v57, v1
	v_pk_fma_f32 v[50:51], v[46:47], v[18:19], v[24:25] op_sel:[0,0,1] op_sel_hi:[1,1,0] neg_lo:[0,0,1] neg_hi:[0,0,1]
	v_pk_fma_f32 v[0:1], v[46:47], v[18:19], v[24:25] op_sel:[0,0,1] op_sel_hi:[1,0,0]
	v_mov_b32_e32 v37, v13
	v_pk_fma_f32 v[46:47], v[42:43], v[14:15], v[26:27] op_sel:[0,0,1] op_sel_hi:[1,1,0] neg_lo:[0,0,1] neg_hi:[0,0,1]
	v_pk_fma_f32 v[12:13], v[42:43], v[14:15], v[26:27] op_sel:[0,0,1] op_sel_hi:[1,0,0]
	v_mov_b32_e32 v51, v1
	v_mov_b32_e32 v47, v13
	v_pk_add_f32 v[22:23], v[56:57], v[46:47] neg_lo:[0,1] neg_hi:[0,1]
	v_pk_add_f32 v[18:19], v[56:57], v[46:47]
	v_pk_mul_f32 v[0:1], v[22:23], s[18:19] op_sel:[1,0] op_sel_hi:[0,0]
	v_pk_fma_f32 v[34:35], v[18:19], s[14:15], v[0:1] op_sel_hi:[1,0,1]
	v_pk_fma_f32 v[26:27], v[18:19], s[14:15], v[0:1] op_sel_hi:[1,0,1] neg_lo:[0,0,1] neg_hi:[0,0,1]
	v_mov_b32_e32 v0, v7
	v_pk_mul_f32 v[0:1], v[52:53], v[0:1] op_sel_hi:[1,0]
	v_mov_b32_e32 v45, v11
	v_pk_fma_f32 v[76:77], v[52:53], v[6:7], v[0:1] op_sel:[0,0,1] op_sel_hi:[1,1,0] neg_lo:[0,0,1] neg_hi:[0,0,1]
	v_pk_fma_f32 v[6:7], v[52:53], v[6:7], v[0:1] op_sel:[0,0,1] op_sel_hi:[1,0,0]
	v_mov_b32_e32 v59, v21
	v_mov_b32_e32 v77, v7
	v_pk_add_f32 v[6:7], v[54:55], v[8:9]
	v_mov_b32_e32 v61, v17
	v_pk_add_f32 v[6:7], v[6:7], v[44:45]
	;; [unrolled: 2-line block ×3, first 2 shown]
	v_pk_add_f32 v[14:15], v[58:59], v[36:37] neg_lo:[0,1] neg_hi:[0,1]
	v_pk_add_f32 v[6:7], v[6:7], v[58:59]
	v_pk_add_f32 v[24:25], v[44:45], v[48:49] neg_lo:[0,1] neg_hi:[0,1]
	v_pk_add_f32 v[6:7], v[6:7], v[60:61]
	;; [unrolled: 2-line block ×3, first 2 shown]
	v_pk_add_f32 v[4:5], v[58:59], v[36:37]
	v_pk_add_f32 v[6:7], v[6:7], v[36:37]
	;; [unrolled: 1-line block ×4, first 2 shown]
	v_mov_b32_e32 v42, v23
	v_mov_b32_e32 v43, v25
	;; [unrolled: 1-line block ×8, first 2 shown]
	v_pk_add_f32 v[6:7], v[6:7], v[48:49]
	v_pk_mul_f32 v[64:65], v[42:43], s[12:13]
	v_pk_mul_f32 v[66:67], v[62:63], s[12:13]
	s_mov_b32 s12, 0xbe903f40
	v_mov_b32_e32 v68, v12
	v_mov_b32_e32 v69, v4
	;; [unrolled: 1-line block ×4, first 2 shown]
	s_mov_b32 s15, s4
	v_pk_mul_f32 v[0:1], v[70:71], s[22:23]
	v_pk_mul_f32 v[80:81], v[10:11], s[22:23]
	v_pk_add_f32 v[46:47], v[6:7], v[76:77]
	v_pk_add_f32 v[6:7], v[54:55], v[76:77]
	v_pk_add_f32 v[36:37], v[54:55], v[76:77] neg_lo:[0,1] neg_hi:[0,1]
	v_pk_add_f32 v[20:21], v[44:45], v[48:49]
	v_pk_mul_f32 v[74:75], v[72:73], s[16:17]
	v_pk_mul_f32 v[52:53], v[10:11], s[12:13]
	v_pk_fma_f32 v[78:79], v[68:69], s[14:15], v[0:1] neg_lo:[0,0,1] neg_hi:[0,0,1]
	v_pk_fma_f32 v[0:1], v[68:69], s[14:15], v[0:1]
	v_pk_mul_f32 v[44:45], v[72:73], s[14:15]
	v_pk_fma_f32 v[56:57], v[72:73], s[14:15], v[80:81]
	v_pk_fma_f32 v[10:11], v[72:73], s[14:15], v[80:81] neg_lo:[0,0,1] neg_hi:[0,0,1]
	v_mov_b32_e32 v48, v6
	v_mov_b32_e32 v49, v37
	s_mov_b32 s15, s18
	v_mov_b32_e32 v58, v7
	v_mov_b32_e32 v59, v36
	v_pk_mul_f32 v[50:51], v[48:49], s[14:15]
	v_mov_b32_e32 v39, v52
	v_mov_b32_e32 v41, v74
	v_pk_mul_f32 v[74:75], v[58:59], s[14:15]
	v_mov_b32_e32 v50, v51
	v_pk_add_f32 v[60:61], v[38:39], v[40:41]
	v_mov_b32_e32 v39, v74
	v_pk_fma_f32 v[54:55], v[48:49], s[14:15], v[50:51] neg_lo:[0,0,1] neg_hi:[0,0,1]
	v_pk_fma_f32 v[74:75], v[58:59], s[14:15], v[38:39]
	v_mov_b32_e32 v82, v18
	v_mov_b32_e32 v55, v75
	v_pk_mul_f32 v[74:75], v[24:25], s[20:21] op_sel:[1,0] op_sel_hi:[0,0]
	s_mov_b32 s21, 0xbf68dda4
	s_mov_b32 s20, 0xbf7d64f0
	v_pk_fma_f32 v[76:77], v[20:21], s[4:5], v[74:75] op_sel_hi:[1,0,1]
	v_pk_fma_f32 v[74:75], v[20:21], s[4:5], v[74:75] op_sel_hi:[1,0,1] neg_lo:[0,0,1] neg_hi:[0,0,1]
	v_mov_b32_e32 v83, v20
	s_mov_b32 s5, 0x3ed4b147
	v_mov_b32_e32 v84, v19
	v_mov_b32_e32 v85, v21
	v_pk_mul_f32 v[62:63], v[62:63], s[20:21]
	v_pk_mul_f32 v[86:87], v[42:43], s[20:21]
	v_pk_fma_f32 v[90:91], v[84:85], s[4:5], v[62:63]
	v_pk_fma_f32 v[88:89], v[82:83], s[4:5], v[86:87] neg_lo:[0,0,1] neg_hi:[0,0,1]
	v_pk_add_f32 v[54:55], v[54:55], v[8:9]
	v_mov_b32_e32 v92, v89
	v_mov_b32_e32 v93, v91
	v_pk_add_f32 v[54:55], v[92:93], v[54:55]
	v_mov_b32_e32 v89, v90
	v_pk_add_f32 v[54:55], v[88:89], v[54:55]
	v_pk_mul_f32 v[88:89], v[70:71], s[12:13]
	v_pk_fma_f32 v[92:93], v[72:73], s[16:17], v[52:53]
	v_pk_fma_f32 v[90:91], v[68:69], s[16:17], v[88:89] neg_lo:[0,0,1] neg_hi:[0,0,1]
	v_lshlrev_b32_sdwa v38, v38, v95 dst_sel:DWORD dst_unused:UNUSED_PAD src0_sel:DWORD src1_sel:BYTE_0
	v_mov_b32_e32 v92, v91
	v_mov_b32_e32 v60, v90
	v_pk_add_f32 v[54:55], v[92:93], v[54:55]
	v_mul_u32_u24_e32 v41, 0x790, v94
	v_pk_add_f32 v[54:55], v[60:61], v[54:55]
	v_add3_u32 v104, 0, v41, v38
	s_mov_b32 s28, s5
	s_mov_b32 s29, s21
	ds_write2_b64 v104, v[46:47], v[54:55] offset1:22
	v_pk_mul_f32 v[46:47], v[48:49], s[28:29]
	v_mov_b32_e32 v41, v80
	v_mov_b32_e32 v45, v44
	;; [unrolled: 1-line block ×3, first 2 shown]
	v_pk_mul_f32 v[46:47], v[58:59], s[28:29]
	v_pk_add_f32 v[44:45], v[40:41], v[44:45]
	v_mov_b32_e32 v41, v46
	v_pk_fma_f32 v[46:47], v[48:49], s[28:29], v[38:39] neg_lo:[0,0,1] neg_hi:[0,0,1]
	v_pk_fma_f32 v[54:55], v[58:59], s[28:29], v[40:41]
	v_pk_fma_f32 v[60:61], v[84:85], s[16:17], v[66:67]
	v_mov_b32_e32 v47, v55
	v_pk_fma_f32 v[54:55], v[82:83], s[16:17], v[64:65] neg_lo:[0,0,1] neg_hi:[0,0,1]
	v_pk_add_f32 v[46:47], v[46:47], v[8:9]
	v_mov_b32_e32 v80, v55
	v_mov_b32_e32 v81, v61
	v_pk_add_f32 v[46:47], v[80:81], v[46:47]
	v_mov_b32_e32 v55, v60
	v_pk_add_f32 v[46:47], v[54:55], v[46:47]
	;; [unrolled: 2-line block ×3, first 2 shown]
	v_pk_fma_f32 v[54:55], v[82:83], s[4:5], v[86:87]
	v_pk_fma_f32 v[56:57], v[84:85], s[4:5], v[62:63] neg_lo:[0,0,1] neg_hi:[0,0,1]
	s_mov_b32 s27, s5
	s_mov_b32 s30, s5
	;; [unrolled: 1-line block ×4, first 2 shown]
	v_mov_b32_e32 v44, v78
	v_pk_mul_f32 v[60:61], v[48:49], s[4:5]
	v_pk_add_f32 v[44:45], v[44:45], v[46:47]
	v_mov_b32_e32 v46, v21
	v_mov_b32_e32 v47, v24
	;; [unrolled: 1-line block ×3, first 2 shown]
	v_pk_mul_f32 v[62:63], v[46:47], s[2:3]
	v_pk_fma_f32 v[78:79], v[48:49], s[4:5], v[60:61] neg_lo:[0,0,1] neg_hi:[0,0,1]
	v_mov_b32_e32 v80, v8
	v_mov_b32_e32 v79, v63
	;; [unrolled: 1-line block ×3, first 2 shown]
	v_pk_add_f32 v[78:79], v[78:79], v[80:81]
	v_mov_b32_e32 v80, v36
	v_mov_b32_e32 v81, v7
	s_mov_b32 s21, s4
	v_pk_mul_f32 v[86:87], v[80:81], s[20:21]
	v_pk_mul_f32 v[42:43], v[42:43], s[34:35]
	v_mov_b32_e32 v90, v87
	v_pk_fma_f32 v[90:91], v[80:81], s[20:21], v[90:91]
	v_pk_fma_f32 v[92:93], v[82:83], s[30:31], v[42:43] neg_lo:[0,0,1] neg_hi:[0,0,1]
	v_mov_b32_e32 v51, v90
	v_pk_add_f32 v[90:91], v[50:51], v[8:9]
	s_mov_b32 s19, s14
	v_mov_b32_e32 v90, v93
	v_pk_add_f32 v[78:79], v[90:91], v[78:79]
	v_mov_b32_e32 v90, v22
	v_mov_b32_e32 v91, v19
	v_pk_mul_f32 v[94:95], v[90:91], s[26:27]
	s_mov_b32 s34, s17
	v_mov_b32_e32 v51, v94
	v_pk_fma_f32 v[94:95], v[90:91], s[26:27], v[50:51]
	s_mov_b32 s35, s13
	v_mov_b32_e32 v93, v95
	v_pk_add_f32 v[78:79], v[92:93], v[78:79]
	v_mov_b32_e32 v92, v14
	v_mov_b32_e32 v93, v5
	v_pk_mul_f32 v[94:95], v[92:93], s[18:19]
	v_pk_mul_f32 v[70:71], v[70:71], s[38:39]
	v_mov_b32_e32 v61, v94
	v_mov_b32_e32 v94, v13
	;; [unrolled: 1-line block ×3, first 2 shown]
	v_pk_mul_f32 v[96:97], v[94:95], s[34:35]
	v_pk_fma_f32 v[98:99], v[68:69], s[36:37], v[70:71] neg_lo:[0,0,1] neg_hi:[0,0,1]
	v_pk_fma_f32 v[100:101], v[68:69], s[36:37], v[70:71]
	v_mov_b32_e32 v71, v96
	v_pk_fma_f32 v[102:103], v[92:93], s[18:19], v[60:61]
	v_pk_fma_f32 v[70:71], v[94:95], s[34:35], v[70:71]
	v_mov_b32_e32 v102, v99
	v_mov_b32_e32 v70, v98
	v_pk_add_f32 v[78:79], v[102:103], v[78:79]
	v_pk_fma_f32 v[52:53], v[72:73], s[16:17], v[52:53] neg_lo:[0,0,1] neg_hi:[0,0,1]
	v_pk_add_f32 v[70:71], v[70:71], v[78:79]
	ds_write2_b64 v104, v[44:45], v[70:71] offset0:44 offset1:66
	v_mov_b32_e32 v45, v62
	v_pk_fma_f32 v[72:73], v[58:59], s[14:15], v[38:39] neg_lo:[1,0,0] neg_hi:[1,0,0]
	v_pk_fma_f32 v[38:39], v[48:49], s[28:29], v[38:39]
	v_pk_fma_f32 v[44:45], v[46:47], s[2:3], v[44:45] neg_lo:[1,0,0] neg_hi:[1,0,0]
	v_pk_fma_f32 v[46:47], v[84:85], s[16:17], v[66:67] neg_lo:[0,0,1] neg_hi:[0,0,1]
	v_pk_fma_f32 v[62:63], v[82:83], s[16:17], v[64:65]
	v_pk_fma_f32 v[64:65], v[90:91], s[26:27], v[50:51] neg_lo:[0,0,1] neg_hi:[0,0,1]
	v_pk_fma_f32 v[66:67], v[92:93], s[18:19], v[60:61] neg_lo:[0,0,1] neg_hi:[0,0,1]
	v_mov_b32_e32 v51, v96
	v_mov_b32_e32 v39, v86
	s_mov_b32 s18, s13
	v_pk_fma_f32 v[68:69], v[68:69], s[16:17], v[88:89]
	v_pk_fma_f32 v[70:71], v[94:95], s[34:35], v[50:51] neg_lo:[1,0,0] neg_hi:[1,0,0]
	v_pk_fma_f32 v[50:51], v[48:49], s[14:15], v[50:51]
	v_pk_fma_f32 v[48:49], v[48:49], s[4:5], v[60:61]
	v_pk_fma_f32 v[60:61], v[80:81], s[20:21], v[38:39] neg_lo:[0,0,1] neg_hi:[0,0,1]
	s_mov_b32 s16, s17
	v_pk_mul_f32 v[80:81], v[36:37], s[18:19] op_sel:[1,0] op_sel_hi:[0,0]
	v_pk_fma_f32 v[42:43], v[82:83], s[30:31], v[42:43]
	v_pk_fma_f32 v[82:83], v[6:7], s[16:17], v[80:81] op_sel_hi:[1,0,1]
	v_pk_fma_f32 v[80:81], v[6:7], s[16:17], v[80:81] op_sel_hi:[1,0,1] neg_lo:[0,0,1] neg_hi:[0,0,1]
	v_mov_b32_e32 v84, v82
	v_mov_b32_e32 v85, v81
	v_mov_b32_e32 v78, v76
	v_mov_b32_e32 v79, v75
	v_pk_add_f32 v[84:85], v[84:85], v[8:9]
	v_mov_b32_e32 v75, v77
	v_pk_add_f32 v[78:79], v[78:79], v[84:85]
	v_mov_b32_e32 v84, v34
	v_mov_b32_e32 v85, v27
	v_pk_add_f32 v[78:79], v[84:85], v[78:79]
	v_pk_mul_f32 v[84:85], v[14:15], s[12:13] op_sel:[1,0] op_sel_hi:[0,0]
	v_mov_b32_e32 v27, v35
	v_pk_mul_f32 v[34:35], v[16:17], s[26:27] op_sel:[1,0] op_sel_hi:[0,0]
	v_pk_fma_f32 v[86:87], v[4:5], s[2:3], v[84:85] op_sel_hi:[1,0,1]
	v_pk_fma_f32 v[84:85], v[4:5], s[2:3], v[84:85] op_sel_hi:[1,0,1] neg_lo:[0,0,1] neg_hi:[0,0,1]
	v_pk_fma_f32 v[76:77], v[12:13], s[24:25], v[34:35] op_sel_hi:[1,0,1]
	v_pk_fma_f32 v[34:35], v[12:13], s[24:25], v[34:35] op_sel_hi:[1,0,1] neg_lo:[0,0,1] neg_hi:[0,0,1]
	v_mov_b32_e32 v81, v83
	v_mov_b32_e32 v88, v86
	;; [unrolled: 1-line block ×7, first 2 shown]
	v_pk_add_f32 v[76:77], v[80:81], v[8:9]
	v_pk_mul_f32 v[24:25], v[24:25], s[22:23] op_sel:[1,0] op_sel_hi:[0,0]
	v_pk_add_f32 v[74:75], v[74:75], v[76:77]
	v_pk_mul_f32 v[22:23], v[22:23], s[18:19] op_sel:[1,0] op_sel_hi:[0,0]
	;; [unrolled: 2-line block ×3, first 2 shown]
	v_pk_add_f32 v[26:27], v[84:85], v[26:27]
	v_pk_fma_f32 v[58:59], v[58:59], s[28:29], v[40:41] neg_lo:[1,0,0] neg_hi:[1,0,0]
	v_pk_add_f32 v[26:27], v[34:35], v[26:27]
	v_pk_fma_f32 v[34:35], v[20:21], s[14:15], v[24:25] op_sel_hi:[1,0,1] neg_lo:[0,0,1] neg_hi:[0,0,1]
	v_pk_fma_f32 v[20:21], v[20:21], s[14:15], v[24:25] op_sel_hi:[1,0,1]
	v_pk_fma_f32 v[24:25], v[18:19], s[16:17], v[22:23] op_sel_hi:[1,0,1] neg_lo:[0,0,1] neg_hi:[0,0,1]
	v_pk_fma_f32 v[18:19], v[18:19], s[16:17], v[22:23] op_sel_hi:[1,0,1]
	v_pk_fma_f32 v[22:23], v[4:5], s[24:25], v[14:15] op_sel_hi:[1,0,1] neg_lo:[0,0,1] neg_hi:[0,0,1]
	v_pk_fma_f32 v[14:15], v[4:5], s[24:25], v[14:15] op_sel_hi:[1,0,1]
	v_pk_mul_f32 v[4:5], v[16:17], s[20:21] op_sel:[1,0] op_sel_hi:[0,0]
	v_pk_fma_f32 v[16:17], v[12:13], s[4:5], v[4:5] op_sel_hi:[1,0,1] neg_lo:[0,0,1] neg_hi:[0,0,1]
	v_pk_fma_f32 v[12:13], v[12:13], s[4:5], v[4:5] op_sel_hi:[1,0,1]
	v_pk_mul_f32 v[4:5], v[36:37], s[12:13] op_sel:[1,0] op_sel_hi:[0,0]
	v_pk_fma_f32 v[36:37], v[6:7], s[2:3], v[4:5] op_sel_hi:[1,0,1] neg_lo:[0,0,1] neg_hi:[0,0,1]
	v_pk_fma_f32 v[6:7], v[6:7], s[2:3], v[4:5] op_sel_hi:[1,0,1]
	v_mov_b32_e32 v74, v36
	v_mov_b32_e32 v75, v7
	;; [unrolled: 1-line block ×5, first 2 shown]
	v_pk_add_f32 v[74:75], v[74:75], v[8:9]
	v_mov_b32_e32 v21, v35
	v_pk_add_f32 v[6:7], v[6:7], v[8:9]
	v_pk_add_f32 v[4:5], v[4:5], v[74:75]
	v_mov_b32_e32 v74, v24
	v_mov_b32_e32 v75, v19
	v_mov_b32_e32 v19, v25
	v_pk_add_f32 v[6:7], v[20:21], v[6:7]
	v_pk_add_f32 v[4:5], v[74:75], v[4:5]
	v_mov_b32_e32 v74, v22
	v_mov_b32_e32 v75, v15
	;; [unrolled: 5-line block ×3, first 2 shown]
	v_pk_add_f32 v[6:7], v[14:15], v[6:7]
	v_mov_b32_e32 v39, v59
	v_pk_add_f32 v[6:7], v[12:13], v[6:7]
	v_pk_add_f32 v[12:13], v[38:39], v[8:9]
	v_mov_b32_e32 v14, v63
	v_mov_b32_e32 v15, v47
	v_pk_add_f32 v[12:13], v[14:15], v[12:13]
	v_mov_b32_e32 v63, v46
	v_pk_add_f32 v[78:79], v[88:89], v[78:79]
	;; [unrolled: 2-line block ×3, first 2 shown]
	v_mov_b32_e32 v14, v1
	v_mov_b32_e32 v15, v11
	v_pk_add_f32 v[74:75], v[74:75], v[4:5]
	v_pk_add_f32 v[4:5], v[86:87], v[78:79]
	v_mov_b32_e32 v49, v61
	v_pk_add_f32 v[12:13], v[14:15], v[12:13]
	v_mov_b32_e32 v1, v10
	v_mov_b32_e32 v51, v73
	ds_write2_b64 v104, v[6:7], v[4:5] offset0:132 offset1:154
	v_pk_add_f32 v[6:7], v[48:49], v[8:9]
	v_mov_b32_e32 v44, v43
	v_pk_add_f32 v[24:25], v[0:1], v[12:13]
	v_pk_add_f32 v[0:1], v[50:51], v[8:9]
	v_mov_b32_e32 v8, v55
	v_mov_b32_e32 v9, v57
	v_pk_add_f32 v[6:7], v[44:45], v[6:7]
	v_mov_b32_e32 v43, v65
	v_pk_add_f32 v[0:1], v[8:9], v[0:1]
	;; [unrolled: 2-line block ×4, first 2 shown]
	v_mov_b32_e32 v8, v69
	v_mov_b32_e32 v9, v53
	v_pk_add_f32 v[6:7], v[66:67], v[6:7]
	v_mov_b32_e32 v101, v71
	v_pk_add_f32 v[0:1], v[8:9], v[0:1]
	v_mov_b32_e32 v69, v52
	ds_write2_b64 v104, v[26:27], v[74:75] offset0:88 offset1:110
	v_pk_add_f32 v[6:7], v[100:101], v[6:7]
	v_pk_add_f32 v[26:27], v[68:69], v[0:1]
	v_add_u32_e32 v0, 0xf00, v40
	ds_write2_b64 v104, v[6:7], v[24:25] offset0:176 offset1:198
	ds_write_b64 v104, v[26:27] offset:1760
	s_waitcnt lgkmcnt(0)
	s_barrier
	ds_read2_b64 v[16:19], v0 offset0:4 offset1:246
	v_add_u32_e32 v0, 0x1e00, v40
	ds_read2_b64 v[12:15], v40 offset1:242
	ds_read2_b64 v[20:23], v0 offset0:8 offset1:250
	ds_read_b64 v[38:39], v40 offset:11616
	s_movk_i32 s2, 0x58
	v_cmp_gt_u32_e32 vcc, s2, v32
	s_movk_i32 s2, 0x57
	v_cmp_lt_u32_e64 s[2:3], s2, v32
                                        ; implicit-def: $vgpr36_vgpr37
                                        ; implicit-def: $vgpr34_vgpr35
	s_and_saveexec_b64 s[4:5], s[2:3]
	s_xor_b64 s[2:3], exec, s[4:5]
; %bb.26:
	v_mov_b32_e32 v34, v25
	v_mov_b32_e32 v35, v2
	;; [unrolled: 1-line block ×3, first 2 shown]
	v_mov_b64_e32 v[36:37], v[26:27]
; %bb.27:
	s_or_saveexec_b64 s[2:3], s[2:3]
                                        ; implicit-def: $vgpr9
	s_xor_b64 exec, exec, s[2:3]
	s_cbranch_execz .LBB0_29
; %bb.28:
	v_add_u32_e32 v0, 0x1000, v40
	ds_read2_b32 v[24:25], v0 offset0:252 offset1:253
	v_add_u32_e32 v0, 0x1b80, v40
	v_add_u32_e32 v4, 0x2a80, v40
	ds_read2_b64 v[0:3], v0 offset1:242
	ds_read2_b64 v[8:11], v4 offset0:4 offset1:246
	v_add_u32_e32 v4, 0x480, v40
	ds_read2_b64 v[4:7], v4 offset0:10 offset1:252
	s_waitcnt lgkmcnt(3)
	v_mov_b32_e32 v34, v25
	s_waitcnt lgkmcnt(2)
	v_mov_b32_e32 v35, v2
	;; [unrolled: 2-line block ×3, first 2 shown]
	v_mov_b32_e32 v37, v1
	v_mov_b32_e32 v26, v8
	;; [unrolled: 1-line block ×3, first 2 shown]
.LBB0_29:
	s_or_b64 exec, exec, s[2:3]
	v_mul_u32_u24_e32 v1, 6, v32
	v_lshlrev_b32_e32 v1, 3, v1
	global_load_dwordx4 v[42:45], v1, s[8:9] offset:1848
	global_load_dwordx4 v[46:49], v1, s[8:9] offset:1864
	global_load_dwordx4 v[50:53], v1, s[8:9] offset:1880
	s_waitcnt lgkmcnt(1)
	v_mov_b32_e32 v54, v22
	v_mov_b32_e32 v55, v19
	;; [unrolled: 1-line block ×9, first 2 shown]
	s_waitcnt lgkmcnt(0)
	v_mov_b32_e32 v62, v39
	s_mov_b32 s4, 0x3eae86e6
	s_mov_b32 s5, 0xbf08b237
	s_mov_b32 s18, 0x3d64c772
	s_mov_b32 s12, s5
	s_mov_b32 s13, s4
	s_mov_b32 s19, 0x3f4a47b2
	s_mov_b32 s20, 0xbf955555
	s_mov_b32 s22, s19
	s_mov_b32 s23, s18
	s_mov_b32 s2, 0x3ee1c552
	s_barrier
	s_mov_b32 s14, 0x3f5ff5aa
	s_mov_b32 s16, 0x3f3bfb3b
	s_waitcnt vmcnt(2)
	v_pk_mul_f32 v[64:65], v[42:43], v[14:15] op_sel_hi:[1,0]
	v_mul_f32_e32 v1, v45, v17
	s_waitcnt vmcnt(1)
	v_mul_f32_e32 v17, v46, v19
	v_mul_f32_e32 v19, v47, v18
	v_mov_b32_e32 v68, v45
	v_mov_b32_e32 v69, v49
	s_waitcnt vmcnt(0)
	v_mul_f32_e32 v18, v51, v23
	v_mov_b32_e32 v71, v46
	v_mov_b32_e32 v46, v51
	;; [unrolled: 1-line block ×5, first 2 shown]
	v_pk_mul_f32 v[72:73], v[52:53], v[38:39] op_sel_hi:[1,0]
	v_pk_fma_f32 v[74:75], v[42:43], v[8:9], v[64:65] op_sel:[0,0,1] op_sel_hi:[1,1,0]
	v_pk_fma_f32 v[14:15], v[42:43], v[14:15], v[64:65] op_sel:[0,1,1] op_sel_hi:[1,1,0] neg_lo:[1,0,0] neg_hi:[1,0,0]
	v_pk_mul_f32 v[42:43], v[68:69], v[60:61]
	v_fma_f32 v18, v50, v22, -v18
	v_pk_mul_f32 v[22:23], v[46:47], v[54:55]
	v_fma_f32 v16, v44, v16, -v1
	v_pk_fma_f32 v[46:47], v[52:53], v[62:63], v[72:73] op_sel:[0,0,1] op_sel_hi:[1,1,0]
	v_pk_fma_f32 v[38:39], v[52:53], v[38:39], v[72:73] op_sel:[0,1,1] op_sel_hi:[1,1,0] neg_lo:[1,0,0] neg_hi:[1,0,0]
	v_pk_fma_f32 v[44:45], v[44:45], v[58:59], v[42:43]
	v_pk_fma_f32 v[42:43], v[66:67], v[58:59], v[42:43] neg_lo:[0,0,1] neg_hi:[0,0,1]
	v_pk_fma_f32 v[50:51], v[50:51], v[56:57], v[22:23]
	v_pk_fma_f32 v[22:23], v[70:71], v[56:57], v[22:23] neg_lo:[0,0,1] neg_hi:[0,0,1]
	v_mul_f32_e32 v21, v48, v21
	v_mul_f32_e32 v49, v49, v20
	v_mov_b32_e32 v75, v15
	v_mov_b32_e32 v47, v39
	;; [unrolled: 1-line block ×6, first 2 shown]
	v_pk_add_f32 v[14:15], v[16:17], v[18:19]
	v_pk_add_f32 v[38:39], v[74:75], v[46:47]
	;; [unrolled: 1-line block ×4, first 2 shown]
	v_mov_b32_e32 v17, v16
	v_mov_b32_e32 v19, v18
	;; [unrolled: 1-line block ×8, first 2 shown]
	v_pk_add_f32 v[46:47], v[74:75], v[46:47] neg_lo:[0,1] neg_hi:[0,1]
	v_pk_add_f32 v[54:55], v[14:15], v[20:21]
	v_pk_add_f32 v[16:17], v[16:17], v[18:19] neg_lo:[0,1] neg_hi:[0,1]
	v_pk_add_f32 v[22:23], v[22:23], v[42:43]
	v_pk_add_f32 v[44:45], v[44:45], v[50:51] neg_lo:[0,1] neg_hi:[0,1]
	v_mov_b32_e32 v53, v47
	v_mov_b32_e32 v57, v38
	;; [unrolled: 1-line block ×9, first 2 shown]
	v_pk_add_f32 v[52:53], v[52:53], v[44:45] neg_lo:[0,1] neg_hi:[0,1]
	v_mov_b32_e32 v18, v22
	v_pk_add_f32 v[56:57], v[56:57], v[14:15] neg_lo:[0,1] neg_hi:[0,1]
	v_pk_add_f32 v[22:23], v[54:55], v[22:23]
	v_pk_add_f32 v[50:51], v[50:51], v[16:17] neg_lo:[0,1] neg_hi:[0,1]
	v_pk_add_f32 v[58:59], v[44:45], v[16:17]
	v_pk_mul_f32 v[52:53], v[52:53], s[12:13]
	v_pk_add_f32 v[18:19], v[20:21], v[18:19] neg_lo:[0,1] neg_hi:[0,1]
	v_pk_add_f32 v[12:13], v[22:23], v[12:13]
	v_pk_mul_f32 v[54:55], v[56:57], s[18:19]
	v_pk_mul_f32 v[42:43], v[50:51], s[4:5]
	v_pk_add_f32 v[58:59], v[58:59], v[46:47]
	v_pk_mul_f32 v[56:57], v[18:19], s[22:23]
	v_pk_fma_f32 v[22:23], v[22:23], s[20:21], v[12:13] op_sel_hi:[1,0,1]
	v_pk_fma_f32 v[18:19], v[18:19], s[22:23], v[54:55]
	v_pk_fma_f32 v[50:51], v[50:51], s[4:5], v[52:53]
	v_pk_add_f32 v[18:19], v[18:19], v[22:23]
	v_pk_fma_f32 v[50:51], v[58:59], s[2:3], v[50:51] op_sel_hi:[1,0,1]
	v_mov_b32_e32 v45, v17
	v_pk_add_f32 v[60:61], v[18:19], v[50:51]
	v_pk_add_f32 v[18:19], v[18:19], v[50:51] neg_lo:[0,1] neg_hi:[0,1]
	v_mov_b32_e32 v50, v60
	v_mov_b32_e32 v51, v19
	;; [unrolled: 1-line block ×4, first 2 shown]
	ds_write2_b64 v40, v[12:13], v[50:51] offset1:242
	v_pk_add_f32 v[12:13], v[44:45], v[46:47] neg_lo:[0,1] neg_hi:[0,1]
	v_pk_add_f32 v[14:15], v[14:15], v[20:21] neg_lo:[0,1] neg_hi:[0,1]
	v_mov_b32_e32 v16, v56
	v_mov_b32_e32 v17, v55
	;; [unrolled: 1-line block ×6, first 2 shown]
	v_pk_fma_f32 v[16:17], v[14:15], s[16:17], v[16:17] op_sel_hi:[1,0,1] neg_lo:[1,0,1] neg_hi:[1,0,1]
	v_pk_fma_f32 v[20:21], v[12:13], s[14:15], v[20:21] op_sel_hi:[1,0,1] neg_lo:[1,0,1] neg_hi:[1,0,1]
	;; [unrolled: 1-line block ×4, first 2 shown]
	v_pk_add_f32 v[16:17], v[16:17], v[22:23]
	v_pk_fma_f32 v[20:21], v[58:59], s[2:3], v[20:21] op_sel_hi:[1,0,1]
	v_pk_add_f32 v[14:15], v[14:15], v[22:23]
	v_pk_fma_f32 v[12:13], v[58:59], s[2:3], v[12:13] op_sel_hi:[1,0,1]
	v_pk_add_f32 v[38:39], v[16:17], v[20:21]
	v_pk_add_f32 v[16:17], v[16:17], v[20:21] neg_lo:[0,1] neg_hi:[0,1]
	v_pk_add_f32 v[22:23], v[14:15], v[12:13] neg_lo:[0,1] neg_hi:[0,1]
	v_pk_add_f32 v[12:13], v[14:15], v[12:13]
	v_mov_b32_e32 v20, v38
	v_mov_b32_e32 v21, v17
	;; [unrolled: 1-line block ×4, first 2 shown]
	v_add_u32_e32 v1, 0xf00, v40
	ds_write2_b64 v1, v[20:21], v[14:15] offset0:4 offset1:246
	v_mov_b32_e32 v13, v23
	v_mov_b32_e32 v17, v39
	v_add_u32_e32 v1, 0x1e00, v40
	v_mov_b32_e32 v19, v61
	ds_write2_b64 v1, v[12:13], v[16:17] offset0:8 offset1:250
	ds_write_b64 v40, v[18:19] offset:11616
	s_and_saveexec_b64 s[24:25], vcc
	s_cbranch_execz .LBB0_31
; %bb.30:
	v_add_u32_e32 v1, 0xffffffa8, v32
	v_cndmask_b32_e32 v1, v1, v33, vcc
	v_mul_i32_i24_e32 v12, 6, v1
	v_mov_b32_e32 v13, 0
	v_lshl_add_u64 v[38:39], v[12:13], 3, s[8:9]
	global_load_dwordx4 v[12:15], v[38:39], off offset:1848
	global_load_dwordx4 v[16:19], v[38:39], off offset:1880
	;; [unrolled: 1-line block ×3, first 2 shown]
	v_mov_b32_e32 v42, v24
	v_mov_b32_e32 v43, v3
	v_mov_b32_e32 v44, v7
	v_mov_b32_e32 v46, v11
	v_mov_b32_e32 v48, v7
	v_mov_b32_e32 v8, v9
	v_mov_b32_e32 v38, v9
	v_mov_b32_e32 v39, v0
	v_add_u32_e32 v33, 0x480, v40
	s_waitcnt vmcnt(2)
	v_pk_mul_f32 v[6:7], v[6:7], v[12:13] op_sel_hi:[0,1]
	s_waitcnt vmcnt(1)
	v_pk_mul_f32 v[10:11], v[10:11], v[18:19] op_sel_hi:[0,1]
	v_mov_b32_e32 v52, v15
	s_waitcnt vmcnt(0)
	v_mov_b32_e32 v53, v23
	v_mov_b32_e32 v56, v17
	;; [unrolled: 1-line block ×3, first 2 shown]
	v_mul_f32_e32 v25, v25, v15
	v_mov_b32_e32 v50, v14
	v_mov_b32_e32 v51, v22
	;; [unrolled: 1-line block ×4, first 2 shown]
	v_mul_f32_e32 v41, v9, v17
	v_mul_f32_e32 v1, v0, v21
	;; [unrolled: 1-line block ×5, first 2 shown]
	v_pk_mul_f32 v[22:23], v[42:43], v[52:53]
	v_pk_mul_f32 v[36:37], v[36:37], v[56:57]
	v_fma_f32 v20, v24, v14, -v25
	v_pk_fma_f32 v[24:25], v[46:47], v[18:19], v[10:11] op_sel:[0,0,1] op_sel_hi:[0,1,0]
	v_pk_fma_f32 v[10:11], v[46:47], v[18:19], v[10:11] op_sel:[0,0,1] op_sel_hi:[0,1,0] neg_lo:[1,0,0] neg_hi:[1,0,0]
	v_pk_fma_f32 v[18:19], v[44:45], v[12:13], v[6:7] op_sel:[0,0,1] op_sel_hi:[1,1,0]
	v_pk_fma_f32 v[6:7], v[48:49], v[12:13], v[6:7] op_sel:[0,0,1] op_sel_hi:[0,1,0] neg_lo:[1,0,0] neg_hi:[1,0,0]
	v_fma_f32 v0, v26, v16, -v41
	v_pk_fma_f32 v[16:17], v[8:9], v[16:17], v[36:37]
	v_pk_fma_f32 v[26:27], v[38:39], v[54:55], v[36:37] neg_lo:[0,0,1] neg_hi:[0,0,1]
	v_pk_fma_f32 v[14:15], v[34:35], v[14:15], v[22:23]
	v_pk_fma_f32 v[22:23], v[34:35], v[50:51], v[22:23] neg_lo:[0,0,1] neg_hi:[0,0,1]
	v_mov_b32_e32 v2, v7
	v_mov_b32_e32 v8, v11
	v_pk_add_f32 v[12:13], v[20:21], v[0:1]
	v_mov_b32_e32 v25, v11
	v_mov_b32_e32 v19, v7
	;; [unrolled: 1-line block ×4, first 2 shown]
	v_pk_add_f32 v[2:3], v[2:3], v[8:9]
	v_mov_b32_e32 v1, v20
	v_mov_b32_e32 v7, v0
	v_pk_add_f32 v[10:11], v[18:19], v[24:25]
	v_mov_b32_e32 v6, v13
	v_mov_b32_e32 v20, v23
	v_pk_add_f32 v[22:23], v[14:15], v[16:17]
	v_mov_b32_e32 v0, v3
	v_pk_add_f32 v[18:19], v[18:19], v[24:25] neg_lo:[0,1] neg_hi:[0,1]
	v_mov_b32_e32 v8, v27
	v_mov_b32_e32 v21, v10
	v_pk_add_f32 v[0:1], v[0:1], v[6:7] neg_lo:[0,1] neg_hi:[0,1]
	v_mov_b32_e32 v9, v22
	v_pk_add_f32 v[14:15], v[14:15], v[16:17] neg_lo:[0,1] neg_hi:[0,1]
	v_mov_b32_e32 v17, v19
	v_pk_add_f32 v[26:27], v[12:13], v[2:3]
	v_mov_b32_e32 v16, v0
	v_pk_add_f32 v[8:9], v[8:9], v[20:21]
	v_mov_b32_e32 v24, v18
	v_mov_b32_e32 v25, v15
	;; [unrolled: 1-line block ×4, first 2 shown]
	v_pk_add_f32 v[16:17], v[16:17], v[14:15] neg_lo:[0,1] neg_hi:[0,1]
	v_pk_add_f32 v[26:27], v[26:27], v[8:9]
	v_mov_b32_e32 v9, v22
	v_pk_add_f32 v[6:7], v[14:15], v[0:1]
	v_pk_add_f32 v[24:25], v[24:25], v[0:1] neg_lo:[0,1] neg_hi:[0,1]
	v_mov_b32_e32 v15, v1
	v_pk_mul_f32 v[0:1], v[16:17], s[12:13]
	v_pk_add_f32 v[16:17], v[2:3], v[8:9] neg_lo:[0,1] neg_hi:[0,1]
	v_mov_b32_e32 v9, v10
	v_pk_add_f32 v[8:9], v[8:9], v[12:13] neg_lo:[0,1] neg_hi:[0,1]
	v_pk_add_f32 v[4:5], v[4:5], v[26:27]
	v_pk_mul_f32 v[8:9], v[8:9], s[18:19]
	v_pk_add_f32 v[6:7], v[6:7], v[18:19]
	v_pk_mul_f32 v[20:21], v[24:25], s[4:5]
	v_pk_add_f32 v[14:15], v[14:15], v[18:19] neg_lo:[0,1] neg_hi:[0,1]
	v_pk_mul_f32 v[18:19], v[16:17], s[22:23]
	v_pk_fma_f32 v[26:27], v[26:27], s[20:21], v[4:5] op_sel_hi:[1,0,1]
	v_pk_fma_f32 v[24:25], v[24:25], s[4:5], v[0:1]
	v_pk_fma_f32 v[16:17], v[16:17], s[22:23], v[8:9]
	v_pk_fma_f32 v[24:25], v[6:7], s[2:3], v[24:25] op_sel_hi:[1,0,1]
	v_pk_add_f32 v[16:17], v[16:17], v[26:27]
	v_mov_b32_e32 v13, v22
	v_pk_add_f32 v[34:35], v[16:17], v[24:25]
	v_pk_add_f32 v[16:17], v[16:17], v[24:25] neg_lo:[0,1] neg_hi:[0,1]
	v_mov_b32_e32 v24, v34
	v_mov_b32_e32 v25, v17
	v_mov_b32_e32 v3, v10
	ds_write2_b64 v33, v[4:5], v[24:25] offset0:10 offset1:252
	v_mov_b32_e32 v4, v18
	v_mov_b32_e32 v5, v9
	v_pk_add_f32 v[2:3], v[12:13], v[2:3] neg_lo:[0,1] neg_hi:[0,1]
	v_mov_b32_e32 v10, v20
	v_mov_b32_e32 v11, v1
	;; [unrolled: 1-line block ×4, first 2 shown]
	v_pk_fma_f32 v[4:5], v[2:3], s[16:17], v[4:5] op_sel_hi:[1,0,1] neg_lo:[1,0,1] neg_hi:[1,0,1]
	v_pk_fma_f32 v[10:11], v[14:15], s[14:15], v[10:11] op_sel_hi:[1,0,1] neg_lo:[1,0,1] neg_hi:[1,0,1]
	v_pk_fma_f32 v[0:1], v[14:15], s[14:15], v[0:1] op_sel_hi:[1,0,1] neg_lo:[0,0,1] neg_hi:[0,0,1]
	v_pk_fma_f32 v[2:3], v[2:3], s[16:17], v[8:9] op_sel_hi:[1,0,1] neg_lo:[0,0,1] neg_hi:[0,0,1]
	v_pk_add_f32 v[4:5], v[4:5], v[26:27]
	v_pk_fma_f32 v[10:11], v[6:7], s[2:3], v[10:11] op_sel_hi:[1,0,1]
	v_pk_fma_f32 v[0:1], v[6:7], s[2:3], v[0:1] op_sel_hi:[1,0,1]
	v_pk_add_f32 v[2:3], v[2:3], v[26:27]
	v_pk_add_f32 v[12:13], v[4:5], v[10:11]
	v_pk_add_f32 v[4:5], v[4:5], v[10:11] neg_lo:[0,1] neg_hi:[0,1]
	v_pk_add_f32 v[6:7], v[2:3], v[0:1] neg_lo:[0,1] neg_hi:[0,1]
	v_pk_add_f32 v[0:1], v[2:3], v[0:1]
	v_mov_b32_e32 v10, v12
	v_mov_b32_e32 v11, v5
	;; [unrolled: 1-line block ×4, first 2 shown]
	v_add_u32_e32 v1, 0x13c0, v40
	ds_write2_b64 v1, v[10:11], v[2:3] offset0:6 offset1:248
	v_mov_b32_e32 v1, v7
	v_mov_b32_e32 v5, v13
	v_add_u32_e32 v2, 0x2300, v40
	v_mov_b32_e32 v17, v35
	ds_write2_b64 v2, v[0:1], v[4:5] offset0:2 offset1:244
	ds_write_b64 v40, v[16:17] offset:12848
.LBB0_31:
	s_or_b64 exec, exec, s[24:25]
	s_waitcnt lgkmcnt(0)
	s_barrier
	s_and_saveexec_b64 s[2:3], s[0:1]
	s_cbranch_execz .LBB0_33
; %bb.32:
	v_mul_lo_u32 v0, s11, v30
	v_mul_lo_u32 v1, s10, v31
	v_mad_u64_u32 v[4:5], s[0:1], s10, v30, 0
	v_lshl_add_u32 v10, v32, 3, 0
	v_add3_u32 v5, v5, v1, v0
	ds_read2_b64 v[0:3], v10 offset1:154
	v_lshl_add_u64 v[4:5], v[4:5], 3, s[6:7]
	v_mov_b32_e32 v33, 0
	v_lshl_add_u64 v[8:9], v[28:29], 3, v[4:5]
	v_lshl_add_u64 v[4:5], v[32:33], 3, v[8:9]
	s_waitcnt lgkmcnt(0)
	global_store_dwordx2 v[4:5], v[0:1], off
	v_add_u32_e32 v4, 0x800, v10
	ds_read2_b64 v[4:7], v4 offset0:52 offset1:206
	v_add_u32_e32 v0, 0x9a, v32
	v_mov_b32_e32 v1, v33
	v_lshl_add_u64 v[0:1], v[0:1], 3, v[8:9]
	global_store_dwordx2 v[0:1], v[2:3], off
	v_add_u32_e32 v0, 0x134, v32
	v_mov_b32_e32 v1, v33
	v_lshl_add_u64 v[0:1], v[0:1], 3, v[8:9]
	s_waitcnt lgkmcnt(0)
	global_store_dwordx2 v[0:1], v[4:5], off
	v_add_u32_e32 v0, 0x1ce, v32
	v_mov_b32_e32 v1, v33
	v_lshl_add_u64 v[4:5], v[0:1], 3, v[8:9]
	v_add_u32_e32 v0, 0x1200, v10
	ds_read2_b64 v[0:3], v0 offset0:40 offset1:194
	global_store_dwordx2 v[4:5], v[6:7], off
	v_add_u32_e32 v4, 0x268, v32
	v_mov_b32_e32 v5, v33
	v_lshl_add_u64 v[4:5], v[4:5], 3, v[8:9]
	s_waitcnt lgkmcnt(0)
	global_store_dwordx2 v[4:5], v[0:1], off
	v_add_u32_e32 v4, 0x1c00, v10
	ds_read2_b64 v[4:7], v4 offset0:28 offset1:182
	v_add_u32_e32 v0, 0x302, v32
	v_mov_b32_e32 v1, v33
	v_lshl_add_u64 v[0:1], v[0:1], 3, v[8:9]
	global_store_dwordx2 v[0:1], v[2:3], off
	v_add_u32_e32 v0, 0x39c, v32
	v_mov_b32_e32 v1, v33
	v_lshl_add_u64 v[0:1], v[0:1], 3, v[8:9]
	s_waitcnt lgkmcnt(0)
	global_store_dwordx2 v[0:1], v[4:5], off
	v_add_u32_e32 v0, 0x436, v32
	v_mov_b32_e32 v1, v33
	v_lshl_add_u64 v[4:5], v[0:1], 3, v[8:9]
	v_add_u32_e32 v0, 0x2400, v10
	ds_read2_b64 v[0:3], v0 offset0:80 offset1:234
	global_store_dwordx2 v[4:5], v[6:7], off
	v_add_u32_e32 v4, 0x4d0, v32
	v_mov_b32_e32 v5, v33
	v_lshl_add_u64 v[4:5], v[4:5], 3, v[8:9]
	s_waitcnt lgkmcnt(0)
	global_store_dwordx2 v[4:5], v[0:1], off
	ds_read_b64 v[4:5], v10 offset:12320
	v_add_u32_e32 v0, 0x56a, v32
	v_mov_b32_e32 v1, v33
	v_lshl_add_u64 v[0:1], v[0:1], 3, v[8:9]
	v_add_u32_e32 v32, 0x604, v32
	global_store_dwordx2 v[0:1], v[2:3], off
	v_lshl_add_u64 v[0:1], v[32:33], 3, v[8:9]
	s_waitcnt lgkmcnt(0)
	global_store_dwordx2 v[0:1], v[4:5], off
.LBB0_33:
	s_endpgm
	.section	.rodata,"a",@progbits
	.p2align	6, 0x0
	.amdhsa_kernel fft_rtc_fwd_len1694_factors_11_2_11_7_wgs_154_tpt_154_halfLds_sp_op_CI_CI_unitstride_sbrr_C2R_dirReg
		.amdhsa_group_segment_fixed_size 0
		.amdhsa_private_segment_fixed_size 0
		.amdhsa_kernarg_size 104
		.amdhsa_user_sgpr_count 2
		.amdhsa_user_sgpr_dispatch_ptr 0
		.amdhsa_user_sgpr_queue_ptr 0
		.amdhsa_user_sgpr_kernarg_segment_ptr 1
		.amdhsa_user_sgpr_dispatch_id 0
		.amdhsa_user_sgpr_kernarg_preload_length 0
		.amdhsa_user_sgpr_kernarg_preload_offset 0
		.amdhsa_user_sgpr_private_segment_size 0
		.amdhsa_uses_dynamic_stack 0
		.amdhsa_enable_private_segment 0
		.amdhsa_system_sgpr_workgroup_id_x 1
		.amdhsa_system_sgpr_workgroup_id_y 0
		.amdhsa_system_sgpr_workgroup_id_z 0
		.amdhsa_system_sgpr_workgroup_info 0
		.amdhsa_system_vgpr_workitem_id 0
		.amdhsa_next_free_vgpr 122
		.amdhsa_next_free_sgpr 40
		.amdhsa_accum_offset 124
		.amdhsa_reserve_vcc 1
		.amdhsa_float_round_mode_32 0
		.amdhsa_float_round_mode_16_64 0
		.amdhsa_float_denorm_mode_32 3
		.amdhsa_float_denorm_mode_16_64 3
		.amdhsa_dx10_clamp 1
		.amdhsa_ieee_mode 1
		.amdhsa_fp16_overflow 0
		.amdhsa_tg_split 0
		.amdhsa_exception_fp_ieee_invalid_op 0
		.amdhsa_exception_fp_denorm_src 0
		.amdhsa_exception_fp_ieee_div_zero 0
		.amdhsa_exception_fp_ieee_overflow 0
		.amdhsa_exception_fp_ieee_underflow 0
		.amdhsa_exception_fp_ieee_inexact 0
		.amdhsa_exception_int_div_zero 0
	.end_amdhsa_kernel
	.text
.Lfunc_end0:
	.size	fft_rtc_fwd_len1694_factors_11_2_11_7_wgs_154_tpt_154_halfLds_sp_op_CI_CI_unitstride_sbrr_C2R_dirReg, .Lfunc_end0-fft_rtc_fwd_len1694_factors_11_2_11_7_wgs_154_tpt_154_halfLds_sp_op_CI_CI_unitstride_sbrr_C2R_dirReg
                                        ; -- End function
	.section	.AMDGPU.csdata,"",@progbits
; Kernel info:
; codeLenInByte = 10320
; NumSgprs: 46
; NumVgprs: 122
; NumAgprs: 0
; TotalNumVgprs: 122
; ScratchSize: 0
; MemoryBound: 0
; FloatMode: 240
; IeeeMode: 1
; LDSByteSize: 0 bytes/workgroup (compile time only)
; SGPRBlocks: 5
; VGPRBlocks: 15
; NumSGPRsForWavesPerEU: 46
; NumVGPRsForWavesPerEU: 122
; AccumOffset: 124
; Occupancy: 4
; WaveLimiterHint : 1
; COMPUTE_PGM_RSRC2:SCRATCH_EN: 0
; COMPUTE_PGM_RSRC2:USER_SGPR: 2
; COMPUTE_PGM_RSRC2:TRAP_HANDLER: 0
; COMPUTE_PGM_RSRC2:TGID_X_EN: 1
; COMPUTE_PGM_RSRC2:TGID_Y_EN: 0
; COMPUTE_PGM_RSRC2:TGID_Z_EN: 0
; COMPUTE_PGM_RSRC2:TIDIG_COMP_CNT: 0
; COMPUTE_PGM_RSRC3_GFX90A:ACCUM_OFFSET: 30
; COMPUTE_PGM_RSRC3_GFX90A:TG_SPLIT: 0
	.text
	.p2alignl 6, 3212836864
	.fill 256, 4, 3212836864
	.type	__hip_cuid_65f1b12b8ba263a1,@object ; @__hip_cuid_65f1b12b8ba263a1
	.section	.bss,"aw",@nobits
	.globl	__hip_cuid_65f1b12b8ba263a1
__hip_cuid_65f1b12b8ba263a1:
	.byte	0                               ; 0x0
	.size	__hip_cuid_65f1b12b8ba263a1, 1

	.ident	"AMD clang version 19.0.0git (https://github.com/RadeonOpenCompute/llvm-project roc-6.4.0 25133 c7fe45cf4b819c5991fe208aaa96edf142730f1d)"
	.section	".note.GNU-stack","",@progbits
	.addrsig
	.addrsig_sym __hip_cuid_65f1b12b8ba263a1
	.amdgpu_metadata
---
amdhsa.kernels:
  - .agpr_count:     0
    .args:
      - .actual_access:  read_only
        .address_space:  global
        .offset:         0
        .size:           8
        .value_kind:     global_buffer
      - .offset:         8
        .size:           8
        .value_kind:     by_value
      - .actual_access:  read_only
        .address_space:  global
        .offset:         16
        .size:           8
        .value_kind:     global_buffer
      - .actual_access:  read_only
        .address_space:  global
        .offset:         24
        .size:           8
        .value_kind:     global_buffer
      - .actual_access:  read_only
        .address_space:  global
        .offset:         32
        .size:           8
        .value_kind:     global_buffer
      - .offset:         40
        .size:           8
        .value_kind:     by_value
      - .actual_access:  read_only
        .address_space:  global
        .offset:         48
        .size:           8
        .value_kind:     global_buffer
      - .actual_access:  read_only
        .address_space:  global
        .offset:         56
        .size:           8
        .value_kind:     global_buffer
      - .offset:         64
        .size:           4
        .value_kind:     by_value
      - .actual_access:  read_only
        .address_space:  global
        .offset:         72
        .size:           8
        .value_kind:     global_buffer
      - .actual_access:  read_only
        .address_space:  global
        .offset:         80
        .size:           8
        .value_kind:     global_buffer
      - .actual_access:  read_only
        .address_space:  global
        .offset:         88
        .size:           8
        .value_kind:     global_buffer
      - .actual_access:  write_only
        .address_space:  global
        .offset:         96
        .size:           8
        .value_kind:     global_buffer
    .group_segment_fixed_size: 0
    .kernarg_segment_align: 8
    .kernarg_segment_size: 104
    .language:       OpenCL C
    .language_version:
      - 2
      - 0
    .max_flat_workgroup_size: 154
    .name:           fft_rtc_fwd_len1694_factors_11_2_11_7_wgs_154_tpt_154_halfLds_sp_op_CI_CI_unitstride_sbrr_C2R_dirReg
    .private_segment_fixed_size: 0
    .sgpr_count:     46
    .sgpr_spill_count: 0
    .symbol:         fft_rtc_fwd_len1694_factors_11_2_11_7_wgs_154_tpt_154_halfLds_sp_op_CI_CI_unitstride_sbrr_C2R_dirReg.kd
    .uniform_work_group_size: 1
    .uses_dynamic_stack: false
    .vgpr_count:     122
    .vgpr_spill_count: 0
    .wavefront_size: 64
amdhsa.target:   amdgcn-amd-amdhsa--gfx950
amdhsa.version:
  - 1
  - 2
...

	.end_amdgpu_metadata
